;; amdgpu-corpus repo=ROCm/rocFFT kind=compiled arch=gfx1201 opt=O3
	.text
	.amdgcn_target "amdgcn-amd-amdhsa--gfx1201"
	.amdhsa_code_object_version 6
	.protected	bluestein_single_fwd_len1134_dim1_sp_op_CI_CI ; -- Begin function bluestein_single_fwd_len1134_dim1_sp_op_CI_CI
	.globl	bluestein_single_fwd_len1134_dim1_sp_op_CI_CI
	.p2align	8
	.type	bluestein_single_fwd_len1134_dim1_sp_op_CI_CI,@function
bluestein_single_fwd_len1134_dim1_sp_op_CI_CI: ; @bluestein_single_fwd_len1134_dim1_sp_op_CI_CI
; %bb.0:
	s_load_b128 s[8:11], s[0:1], 0x28
	v_mul_u32_u24_e32 v1, 0x209, v0
	s_mov_b32 s2, exec_lo
	v_mov_b32_e32 v91, 0
	s_delay_alu instid0(VALU_DEP_2) | instskip(NEXT) | instid1(VALU_DEP_1)
	v_lshrrev_b32_e32 v1, 16, v1
	v_add_nc_u32_e32 v90, ttmp9, v1
	s_wait_kmcnt 0x0
	s_delay_alu instid0(VALU_DEP_1)
	v_cmpx_gt_u64_e64 s[8:9], v[90:91]
	s_cbranch_execz .LBB0_23
; %bb.1:
	s_clause 0x1
	s_load_b128 s[4:7], s[0:1], 0x18
	s_load_b64 s[16:17], s[0:1], 0x0
	v_mul_lo_u16 v1, 0x7e, v1
	s_movk_i32 s2, 0xfe47
	s_mov_b32 s3, -1
	s_delay_alu instid0(VALU_DEP_1) | instskip(NEXT) | instid1(VALU_DEP_1)
	v_sub_nc_u16 v24, v0, v1
	v_and_b32_e32 v114, 0xffff, v24
	s_wait_kmcnt 0x0
	s_load_b128 s[12:15], s[4:5], 0x0
	s_wait_kmcnt 0x0
	v_mad_co_u64_u32 v[0:1], null, s14, v90, 0
	v_mad_co_u64_u32 v[2:3], null, s12, v114, 0
	s_mul_u64 s[4:5], s[12:13], 0x237
	s_mul_u64 s[2:3], s[12:13], s[2:3]
	s_delay_alu instid0(SALU_CYCLE_1) | instskip(NEXT) | instid1(VALU_DEP_1)
	s_lshl_b64 s[2:3], s[2:3], 3
	v_mad_co_u64_u32 v[4:5], null, s15, v90, v[1:2]
	s_delay_alu instid0(VALU_DEP_1) | instskip(NEXT) | instid1(VALU_DEP_3)
	v_mov_b32_e32 v1, v4
	v_mad_co_u64_u32 v[5:6], null, s13, v114, v[3:4]
	v_lshlrev_b32_e32 v113, 3, v114
	s_clause 0x2
	global_load_b64 v[95:96], v113, s[16:17]
	global_load_b64 v[97:98], v113, s[16:17] offset:1008
	global_load_b64 v[99:100], v113, s[16:17] offset:2016
	v_mov_b32_e32 v3, v5
	v_lshlrev_b64_e32 v[0:1], 3, v[0:1]
	s_delay_alu instid0(VALU_DEP_2) | instskip(NEXT) | instid1(VALU_DEP_2)
	v_lshlrev_b64_e32 v[2:3], 3, v[2:3]
	v_add_co_u32 v0, vcc_lo, s10, v0
	s_delay_alu instid0(VALU_DEP_3) | instskip(SKIP_1) | instid1(VALU_DEP_2)
	v_add_co_ci_u32_e32 v1, vcc_lo, s11, v1, vcc_lo
	s_lshl_b64 s[10:11], s[4:5], 3
	v_add_co_u32 v0, vcc_lo, v0, v2
	s_wait_alu 0xfffd
	s_delay_alu instid0(VALU_DEP_2) | instskip(SKIP_1) | instid1(VALU_DEP_2)
	v_add_co_ci_u32_e32 v1, vcc_lo, v1, v3, vcc_lo
	s_wait_alu 0xfffe
	v_add_co_u32 v2, vcc_lo, v0, s10
	s_wait_alu 0xfffd
	s_delay_alu instid0(VALU_DEP_2)
	v_add_co_ci_u32_e32 v3, vcc_lo, s11, v1, vcc_lo
	s_clause 0x1
	global_load_b64 v[6:7], v[0:1], off
	global_load_b64 v[8:9], v[2:3], off
	s_clause 0x2
	global_load_b64 v[107:108], v113, s[16:17] offset:4536
	global_load_b64 v[105:106], v113, s[16:17] offset:5544
	;; [unrolled: 1-line block ×3, first 2 shown]
	v_add_co_u32 v4, vcc_lo, v2, s2
	s_wait_alu 0xfffd
	v_add_co_ci_u32_e32 v5, vcc_lo, s3, v3, vcc_lo
	s_delay_alu instid0(VALU_DEP_2) | instskip(SKIP_1) | instid1(VALU_DEP_2)
	v_add_co_u32 v0, vcc_lo, v4, s10
	s_wait_alu 0xfffd
	v_add_co_ci_u32_e32 v1, vcc_lo, s11, v5, vcc_lo
	s_clause 0x1
	global_load_b64 v[4:5], v[4:5], off
	global_load_b64 v[10:11], v[0:1], off
	v_add_co_u32 v2, vcc_lo, v0, s2
	s_wait_alu 0xfffd
	v_add_co_ci_u32_e32 v3, vcc_lo, s3, v1, vcc_lo
	s_delay_alu instid0(VALU_DEP_2) | instskip(SKIP_1) | instid1(VALU_DEP_2)
	v_add_co_u32 v0, vcc_lo, v2, s10
	s_wait_alu 0xfffd
	v_add_co_ci_u32_e32 v1, vcc_lo, s11, v3, vcc_lo
	global_load_b64 v[12:13], v[2:3], off
	v_add_co_u32 v2, vcc_lo, v0, s2
	s_wait_alu 0xfffd
	v_add_co_ci_u32_e32 v3, vcc_lo, s3, v1, vcc_lo
	global_load_b64 v[14:15], v[0:1], off
	v_add_co_u32 v0, vcc_lo, v2, s10
	s_wait_alu 0xfffd
	v_add_co_ci_u32_e32 v1, vcc_lo, s11, v3, vcc_lo
	v_cmp_gt_u16_e32 vcc_lo, 63, v24
	s_wait_loadcnt 0x8
	v_mul_f32_e32 v22, v7, v96
	s_wait_loadcnt 0x6
	v_mul_f32_e32 v20, v9, v108
	global_load_b64 v[101:102], v113, s[16:17] offset:3024
	global_load_b64 v[16:17], v[2:3], off
	global_load_b64 v[103:104], v113, s[16:17] offset:7560
	global_load_b64 v[18:19], v[0:1], off
	v_add_nc_u32_e32 v2, 0x400, v113
	v_add_nc_u32_e32 v25, 0x1400, v113
	v_dual_mul_f32 v3, v8, v108 :: v_dual_fmac_f32 v22, v6, v95
	s_load_b64 s[8:9], s[0:1], 0x38
	s_load_b128 s[4:7], s[6:7], 0x0
	v_dual_mul_f32 v23, v6, v96 :: v_dual_fmac_f32 v20, v8, v107
	s_delay_alu instid0(VALU_DEP_2)
	v_fma_f32 v21, v9, v107, -v3
	v_add_co_u32 v91, s12, s16, v113
	s_wait_loadcnt 0x7
	v_mul_f32_e32 v8, v4, v98
	s_wait_loadcnt 0x6
	v_mul_f32_e32 v6, v11, v106
	v_fma_f32 v23, v7, v95, -v23
	ds_store_b64 v113, v[20:21] offset:4536
	s_wait_alu 0xf1ff
	v_add_co_ci_u32_e64 v92, null, s17, 0, s12
	s_wait_loadcnt 0x5
	v_mul_f32_e32 v9, v12, v100
	v_dual_mul_f32 v3, v5, v98 :: v_dual_fmac_f32 v6, v10, v105
	s_delay_alu instid0(VALU_DEP_2) | instskip(NEXT) | instid1(VALU_DEP_2)
	v_fma_f32 v9, v13, v99, -v9
	v_fmac_f32_e32 v3, v4, v97
	v_fma_f32 v4, v5, v97, -v8
	v_dual_mul_f32 v8, v13, v100 :: v_dual_mul_f32 v5, v10, v106
	s_wait_loadcnt 0x4
	v_mul_f32_e32 v10, v15, v94
	s_delay_alu instid0(VALU_DEP_2) | instskip(NEXT) | instid1(VALU_DEP_3)
	v_fmac_f32_e32 v8, v12, v99
	v_fma_f32 v7, v11, v105, -v5
	v_mul_f32_e32 v5, v14, v94
	s_wait_loadcnt 0x2
	v_dual_fmac_f32 v10, v14, v93 :: v_dual_mul_f32 v13, v16, v102
	v_mul_f32_e32 v12, v17, v102
	s_wait_loadcnt 0x0
	v_mul_f32_e32 v14, v19, v104
	v_mul_f32_e32 v20, v18, v104
	v_fma_f32 v11, v15, v93, -v5
	v_fma_f32 v13, v17, v101, -v13
	v_fmac_f32_e32 v12, v16, v101
	v_fmac_f32_e32 v14, v18, v103
	v_fma_f32 v15, v19, v103, -v20
	ds_store_2addr_b64 v113, v[22:23], v[3:4] offset1:126
	ds_store_2addr_b64 v25, v[6:7], v[10:11] offset0:53 offset1:179
	ds_store_2addr_b64 v2, v[8:9], v[12:13] offset0:124 offset1:250
	ds_store_b64 v113, v[14:15] offset:7560
	s_and_saveexec_b32 s12, vcc_lo
	s_cbranch_execz .LBB0_3
; %bb.2:
	v_add_co_u32 v0, s2, v0, s2
	s_wait_alu 0xf1ff
	v_add_co_ci_u32_e64 v1, s2, s3, v1, s2
	s_delay_alu instid0(VALU_DEP_2) | instskip(SKIP_1) | instid1(VALU_DEP_2)
	v_add_co_u32 v3, s2, v0, s10
	s_wait_alu 0xf1ff
	v_add_co_ci_u32_e64 v4, s2, s11, v1, s2
	global_load_b64 v[0:1], v[0:1], off
	s_clause 0x1
	global_load_b64 v[5:6], v[91:92], off offset:4032
	global_load_b64 v[7:8], v[91:92], off offset:8568
	global_load_b64 v[3:4], v[3:4], off
	s_wait_loadcnt 0x2
	v_mul_f32_e32 v9, v1, v6
	v_mul_f32_e32 v10, v0, v6
	s_wait_loadcnt 0x0
	v_mul_f32_e32 v6, v4, v8
	s_delay_alu instid0(VALU_DEP_3) | instskip(NEXT) | instid1(VALU_DEP_3)
	v_dual_mul_f32 v8, v3, v8 :: v_dual_fmac_f32 v9, v0, v5
	v_fma_f32 v10, v1, v5, -v10
	s_delay_alu instid0(VALU_DEP_3) | instskip(NEXT) | instid1(VALU_DEP_3)
	v_fmac_f32_e32 v6, v3, v7
	v_fma_f32 v7, v4, v7, -v8
	ds_store_b64 v113, v[9:10] offset:4032
	ds_store_b64 v113, v[6:7] offset:8568
.LBB0_3:
	s_wait_alu 0xfffe
	s_or_b32 exec_lo, exec_lo, s12
	v_add_nc_u32_e32 v0, 0x1000, v113
	v_add_nc_u32_e32 v4, 0x1800, v113
	global_wb scope:SCOPE_SE
	s_wait_dscnt 0x0
	s_wait_kmcnt 0x0
	s_barrier_signal -1
	s_barrier_wait -1
	global_inv scope:SCOPE_SE
	ds_load_2addr_b64 v[8:11], v113 offset1:126
	ds_load_2addr_b64 v[12:15], v0 offset0:55 offset1:181
	ds_load_2addr_b64 v[0:3], v2 offset0:124 offset1:250
	;; [unrolled: 1-line block ×3, first 2 shown]
	s_load_b64 s[2:3], s[0:1], 0x8
                                        ; implicit-def: $vgpr18
                                        ; implicit-def: $vgpr16
	s_and_saveexec_b32 s0, vcc_lo
	s_cbranch_execz .LBB0_5
; %bb.4:
	ds_load_b64 v[16:17], v113 offset:4032
	ds_load_b64 v[18:19], v113 offset:8568
.LBB0_5:
	s_wait_alu 0xfffe
	s_or_b32 exec_lo, exec_lo, s0
	v_add_co_u32 v24, s0, 0x7e, v114
	s_wait_dscnt 0x2
	v_dual_sub_f32 v22, v8, v12 :: v_dual_lshlrev_b32 v119, 4, v114
	s_wait_alu 0xf1ff
	v_add_co_ci_u32_e64 v20, null, 0, 0, s0
	v_add_co_u32 v27, s0, 0xfc, v114
	s_wait_alu 0xf1ff
	v_add_co_ci_u32_e64 v20, null, 0, 0, s0
	v_dual_sub_f32 v23, v9, v13 :: v_dual_sub_f32 v12, v10, v14
	v_sub_f32_e32 v13, v11, v15
	v_fma_f32 v20, v8, 2.0, -v22
	s_wait_dscnt 0x0
	v_sub_f32_e32 v8, v0, v4
	v_fma_f32 v21, v9, 2.0, -v23
	v_dual_sub_f32 v9, v1, v5 :: v_dual_sub_f32 v4, v2, v6
	v_add_co_u32 v14, null, 0x1f8, v114
	s_delay_alu instid0(VALU_DEP_4) | instskip(SKIP_4) | instid1(VALU_DEP_4)
	v_fma_f32 v6, v0, 2.0, -v8
	v_lshlrev_b16 v0, 1, v114
	v_dual_sub_f32 v5, v3, v7 :: v_dual_sub_f32 v64, v16, v18
	v_sub_f32_e32 v65, v17, v19
	v_lshlrev_b32_e32 v117, 4, v24
	v_and_b32_e32 v0, 0xffff, v0
	v_lshlrev_b32_e32 v118, 4, v27
	v_lshlrev_b32_e32 v115, 4, v14
	v_fma_f32 v10, v10, 2.0, -v12
	v_fma_f32 v11, v11, 2.0, -v13
	v_lshlrev_b32_e32 v116, 3, v0
	v_fma_f32 v7, v1, 2.0, -v9
	v_fma_f32 v2, v2, 2.0, -v4
	;; [unrolled: 1-line block ×3, first 2 shown]
	global_wb scope:SCOPE_SE
	s_wait_kmcnt 0x0
	s_barrier_signal -1
	s_barrier_wait -1
	global_inv scope:SCOPE_SE
	ds_store_b128 v116, v[20:23]
	ds_store_b128 v117, v[10:13]
	;; [unrolled: 1-line block ×3, first 2 shown]
	ds_store_b128 v119, v[2:5] offset:6048
	s_and_saveexec_b32 s0, vcc_lo
	s_cbranch_execz .LBB0_7
; %bb.6:
	v_fma_f32 v63, v17, 2.0, -v65
	v_fma_f32 v62, v16, 2.0, -v64
	ds_store_b128 v115, v[62:65]
.LBB0_7:
	s_wait_alu 0xfffe
	s_or_b32 exec_lo, exec_lo, s0
	v_and_b32_e32 v22, 1, v114
	global_wb scope:SCOPE_SE
	s_wait_dscnt 0x0
	s_barrier_signal -1
	s_barrier_wait -1
	global_inv scope:SCOPE_SE
	v_lshlrev_b32_e32 v0, 4, v22
	ds_load_2addr_b64 v[4:7], v113 offset1:126
	ds_load_b64 v[20:21], v113 offset:8064
	v_lshrrev_b32_e32 v30, 1, v24
	v_lshrrev_b32_e32 v23, 1, v114
	global_load_b128 v[0:3], v0, s[2:3]
	v_add_nc_u32_e32 v26, 0x400, v113
	v_add_nc_u32_e32 v132, 0x1400, v113
	;; [unrolled: 1-line block ×3, first 2 shown]
	v_lshrrev_b32_e32 v31, 1, v27
	ds_load_2addr_b64 v[8:11], v26 offset0:124 offset1:250
	ds_load_2addr_b64 v[12:15], v132 offset0:116 offset1:242
	;; [unrolled: 1-line block ×3, first 2 shown]
	v_and_b32_e32 v28, 0xff, v114
	v_and_b32_e32 v29, 0xff, v24
	;; [unrolled: 1-line block ×3, first 2 shown]
	v_mul_u32_u24_e32 v30, 6, v30
	v_mul_u32_u24_e32 v23, 6, v23
	v_mul_u32_u24_e32 v31, 6, v31
	global_wb scope:SCOPE_SE
	s_wait_loadcnt_dscnt 0x0
	s_barrier_signal -1
	v_or_b32_e32 v30, v30, v22
	v_or_b32_e32 v23, v23, v22
	;; [unrolled: 1-line block ×3, first 2 shown]
	s_barrier_wait -1
	global_inv scope:SCOPE_SE
	v_lshlrev_b32_e32 v121, 3, v30
                                        ; implicit-def: $vgpr76
                                        ; implicit-def: $vgpr80
                                        ; implicit-def: $vgpr109
	v_mul_f32_e32 v46, v19, v1
	v_mul_f32_e32 v43, v16, v1
	v_mul_lo_u16 v33, 0xab, v28
	v_mul_f32_e32 v42, v17, v1
	v_mul_lo_u16 v34, 0xab, v29
	v_mul_f32_e32 v47, v18, v1
	v_mul_u32_u24_e32 v35, 0xaaab, v32
	v_lshrrev_b16 v33, 10, v33
	v_mul_f32_e32 v31, v11, v1
	v_lshrrev_b16 v34, 10, v34
	v_mul_f32_e32 v39, v10, v1
	v_lshrrev_b32_e32 v35, 18, v35
	v_mul_lo_u16 v36, v33, 6
	v_mul_f32_e32 v40, v13, v3
	v_mul_lo_u16 v37, v34, 6
	v_mul_f32_e32 v41, v12, v3
	v_mul_lo_u16 v38, v35, 6
	v_sub_nc_u16 v36, v114, v36
	v_mul_f32_e32 v45, v14, v3
	v_sub_nc_u16 v37, v24, v37
	v_mul_f32_e32 v44, v15, v3
	v_dual_mul_f32 v48, v21, v3 :: v_dual_fmac_f32 v47, v19, v0
	v_dual_mul_f32 v49, v20, v3 :: v_dual_and_b32 v36, 0xff, v36
	s_delay_alu instid0(VALU_DEP_4)
	v_and_b32_e32 v37, 0xff, v37
	v_sub_nc_u16 v38, v27, v38
	v_dual_fmac_f32 v39, v11, v0 :: v_dual_lshlrev_b32 v122, 3, v23
	v_dual_fmac_f32 v43, v17, v0 :: v_dual_lshlrev_b32 v120, 3, v22
	;; [unrolled: 1-line block ×3, first 2 shown]
	v_fma_f32 v10, v10, v0, -v31
	v_fma_f32 v11, v12, v2, -v40
	v_dual_fmac_f32 v45, v15, v2 :: v_dual_lshlrev_b32 v30, 4, v37
	v_fma_f32 v12, v16, v0, -v42
	v_fma_f32 v13, v14, v2, -v44
	;; [unrolled: 1-line block ×4, first 2 shown]
	v_dual_fmac_f32 v49, v21, v2 :: v_dual_sub_f32 v18, v39, v41
	v_lshlrev_b16 v23, 4, v38
	v_dual_add_f32 v17, v10, v11 :: v_dual_add_f32 v20, v39, v41
	v_dual_add_f32 v19, v5, v39 :: v_dual_sub_f32 v40, v43, v45
	v_dual_add_f32 v31, v6, v12 :: v_dual_add_f32 v42, v7, v43
	v_dual_add_f32 v39, v12, v13 :: v_dual_add_f32 v48, v14, v15
	;; [unrolled: 1-line block ×3, first 2 shown]
	v_dual_sub_f32 v50, v47, v49 :: v_dual_add_f32 v51, v9, v47
	v_dual_add_f32 v47, v47, v49 :: v_dual_sub_f32 v52, v14, v15
	v_dual_add_f32 v16, v4, v10 :: v_dual_and_b32 v23, 0xffff, v23
	v_dual_sub_f32 v21, v10, v11 :: v_dual_sub_f32 v44, v12, v13
	v_fma_f32 v4, -0.5, v17, v4
	v_fma_f32 v5, -0.5, v20, v5
	v_dual_add_f32 v12, v31, v13 :: v_dual_fmac_f32 v7, -0.5, v43
	v_fma_f32 v6, -0.5, v39, v6
	v_fma_f32 v8, -0.5, v48, v8
	v_fmac_f32_e32 v9, -0.5, v47
	v_dual_add_f32 v10, v16, v11 :: v_dual_add_f32 v11, v19, v41
	v_fmamk_f32 v16, v18, 0x3f5db3d7, v4
	v_fmamk_f32 v17, v21, 0xbf5db3d7, v5
	v_dual_add_f32 v13, v42, v45 :: v_dual_fmac_f32 v4, 0xbf5db3d7, v18
	v_dual_fmac_f32 v5, 0x3f5db3d7, v21 :: v_dual_fmamk_f32 v18, v40, 0x3f5db3d7, v6
	v_dual_fmamk_f32 v19, v44, 0xbf5db3d7, v7 :: v_dual_fmac_f32 v6, 0xbf5db3d7, v40
	v_dual_fmac_f32 v7, 0x3f5db3d7, v44 :: v_dual_fmamk_f32 v20, v50, 0x3f5db3d7, v8
	v_dual_add_f32 v14, v46, v15 :: v_dual_add_f32 v15, v51, v49
	v_dual_fmamk_f32 v21, v52, 0xbf5db3d7, v9 :: v_dual_fmac_f32 v8, 0xbf5db3d7, v50
	v_fmac_f32_e32 v9, 0x3f5db3d7, v52
	ds_store_2addr_b64 v122, v[10:11], v[16:17] offset1:2
	ds_store_b64 v122, v[4:5] offset:32
	ds_store_2addr_b64 v121, v[12:13], v[18:19] offset1:2
	ds_store_b64 v121, v[6:7] offset:32
	;; [unrolled: 2-line block ×3, first 2 shown]
	global_wb scope:SCOPE_SE
	s_wait_dscnt 0x0
	s_barrier_signal -1
	s_barrier_wait -1
	global_inv scope:SCOPE_SE
	global_load_b128 v[12:15], v22, s[2:3] offset:32
	v_add_co_u32 v4, s0, s2, v23
	s_wait_alu 0xf1ff
	v_add_co_ci_u32_e64 v5, null, s3, 0, s0
	s_clause 0x1
	global_load_b128 v[8:11], v30, s[2:3] offset:32
	global_load_b128 v[4:7], v[4:5], off offset:32
	v_mul_u32_u24_e32 v18, 0xe38f, v32
	v_mul_lo_u16 v16, v28, 57
	v_mul_lo_u16 v17, v29, 57
	v_mad_u16 v35, v35, 18, v38
	v_mul_lo_u16 v28, v28, 19
	v_lshrrev_b32_e32 v42, 20, v18
	v_lshrrev_b16 v40, 10, v16
	v_lshrrev_b16 v41, 10, v17
	v_mul_lo_u16 v29, v29, 19
	s_delay_alu instid0(VALU_DEP_4) | instskip(NEXT) | instid1(VALU_DEP_4)
	v_mul_lo_u16 v20, v42, 18
	v_mul_lo_u16 v18, v40, 18
	s_delay_alu instid0(VALU_DEP_4) | instskip(NEXT) | instid1(VALU_DEP_3)
	v_mul_lo_u16 v19, v41, 18
	v_sub_nc_u16 v44, v27, v20
	ds_load_2addr_b64 v[20:23], v132 offset0:116 offset1:242
	v_sub_nc_u16 v30, v114, v18
	v_and_b32_e32 v16, 0xffff, v33
	v_and_b32_e32 v17, 0xffff, v34
	v_sub_nc_u16 v43, v24, v19
	s_delay_alu instid0(VALU_DEP_4)
	v_and_b32_e32 v45, 0xff, v30
	ds_load_2addr_b64 v[30:33], v25 offset0:120 offset1:246
	s_wait_loadcnt_dscnt 0x201
	v_mul_f32_e32 v52, v20, v15
	v_mul_u32_u24_e32 v39, 18, v17
	v_mul_f32_e32 v51, v21, v15
	v_mul_u32_u24_e32 v34, 18, v16
	ds_load_2addr_b64 v[16:19], v26 offset0:124 offset1:250
	v_and_b32_e32 v46, 0xff, v43
	v_add_lshl_u32 v124, v39, v37, 3
	ds_load_b64 v[38:39], v113 offset:8064
	v_add_lshl_u32 v125, v34, v36, 3
	s_wait_loadcnt_dscnt 0x102
	v_dual_mul_f32 v53, v31, v9 :: v_dual_and_b32 v34, 0xffff, v35
	v_lshlrev_b16 v43, 4, v44
	v_mul_f32_e32 v54, v30, v9
	v_dual_mul_f32 v56, v22, v11 :: v_dual_lshlrev_b32 v47, 4, v45
	s_delay_alu instid0(VALU_DEP_4)
	v_lshlrev_b32_e32 v123, 3, v34
	ds_load_2addr_b64 v[34:37], v113 offset1:126
	v_dual_mul_f32 v55, v23, v11 :: v_dual_fmac_f32 v52, v21, v14
	s_wait_loadcnt 0x0
	v_dual_mul_f32 v58, v32, v5 :: v_dual_and_b32 v43, 0xffff, v43
	global_wb scope:SCOPE_SE
	s_wait_dscnt 0x0
	v_fma_f32 v22, v22, v10, -v55
	s_barrier_signal -1
	v_mul_f32_e32 v49, v19, v13
	v_mul_f32_e32 v50, v18, v13
	;; [unrolled: 1-line block ×3, first 2 shown]
	v_dual_mul_f32 v59, v39, v7 :: v_dual_fmac_f32 v58, v33, v4
	v_mul_f32_e32 v60, v38, v7
	v_fma_f32 v18, v18, v12, -v49
	v_fmac_f32_e32 v50, v19, v12
	v_fma_f32 v19, v20, v14, -v51
	v_fma_f32 v20, v30, v8, -v53
	v_fmac_f32_e32 v54, v31, v8
	v_fmac_f32_e32 v56, v23, v10
	v_fma_f32 v21, v32, v4, -v57
	v_add_f32_e32 v31, v18, v19
	v_fma_f32 v30, v38, v6, -v59
	v_dual_fmac_f32 v60, v39, v6 :: v_dual_sub_f32 v33, v50, v52
	v_add_f32_e32 v23, v34, v18
	v_dual_add_f32 v38, v50, v52 :: v_dual_add_f32 v53, v37, v54
	v_dual_add_f32 v32, v35, v50 :: v_dual_sub_f32 v39, v18, v19
	v_dual_add_f32 v50, v20, v22 :: v_dual_sub_f32 v51, v54, v56
	;; [unrolled: 1-line block ×3, first 2 shown]
	v_dual_add_f32 v49, v36, v20 :: v_dual_add_f32 v62, v17, v58
	v_add_f32_e32 v57, v16, v21
	v_dual_add_f32 v59, v21, v30 :: v_dual_add_f32 v18, v23, v19
	s_delay_alu instid0(VALU_DEP_3)
	v_dual_sub_f32 v61, v58, v60 :: v_dual_add_f32 v22, v49, v22
	v_add_f32_e32 v58, v58, v60
	v_fma_f32 v20, -0.5, v31, v34
	v_sub_f32_e32 v63, v21, v30
	v_fma_f32 v21, -0.5, v38, v35
	v_fma_f32 v36, -0.5, v50, v36
	v_fmac_f32_e32 v37, -0.5, v54
	v_fma_f32 v16, -0.5, v59, v16
	v_fmac_f32_e32 v17, -0.5, v58
	v_dual_add_f32 v19, v32, v52 :: v_dual_add_f32 v30, v57, v30
	v_fmamk_f32 v32, v33, 0x3f5db3d7, v20
	v_dual_fmac_f32 v20, 0xbf5db3d7, v33 :: v_dual_fmamk_f32 v33, v39, 0xbf5db3d7, v21
	v_fmac_f32_e32 v21, 0x3f5db3d7, v39
	v_dual_add_f32 v23, v53, v56 :: v_dual_fmamk_f32 v34, v51, 0x3f5db3d7, v36
	v_fmamk_f32 v35, v55, 0xbf5db3d7, v37
	v_dual_add_f32 v31, v62, v60 :: v_dual_fmac_f32 v36, 0xbf5db3d7, v51
	v_dual_fmac_f32 v37, 0x3f5db3d7, v55 :: v_dual_fmamk_f32 v38, v61, 0x3f5db3d7, v16
	v_fmamk_f32 v39, v63, 0xbf5db3d7, v17
	s_barrier_wait -1
	global_inv scope:SCOPE_SE
	v_fmac_f32_e32 v16, 0xbf5db3d7, v61
	v_fmac_f32_e32 v17, 0x3f5db3d7, v63
	ds_store_2addr_b64 v125, v[18:19], v[32:33] offset1:6
	ds_store_b64 v125, v[20:21] offset:96
	ds_store_2addr_b64 v124, v[22:23], v[34:35] offset1:6
	ds_store_b64 v124, v[36:37] offset:96
	;; [unrolled: 2-line block ×3, first 2 shown]
	global_wb scope:SCOPE_SE
	s_wait_dscnt 0x0
	s_barrier_signal -1
	s_barrier_wait -1
	global_inv scope:SCOPE_SE
	global_load_b128 v[36:39], v47, s[2:3] offset:128
	v_add_co_u32 v16, s0, s2, v43
	v_lshlrev_b32_e32 v48, 4, v46
	s_wait_alu 0xf1ff
	v_add_co_ci_u32_e64 v17, null, s3, 0, s0
	s_clause 0x1
	global_load_b128 v[20:23], v48, s[2:3] offset:128
	global_load_b128 v[16:19], v[16:17], off offset:128
	v_lshrrev_b16 v30, 1, v27
	v_lshrrev_b16 v52, 10, v28
	v_lshrrev_b16 v53, 10, v29
	v_mad_u16 v44, v42, 54, v44
	s_delay_alu instid0(VALU_DEP_4) | instskip(NEXT) | instid1(VALU_DEP_4)
	v_and_b32_e32 v30, 0xffff, v30
	v_mul_lo_u16 v31, v52, 54
	s_delay_alu instid0(VALU_DEP_4) | instskip(NEXT) | instid1(VALU_DEP_3)
	v_mul_lo_u16 v32, v53, 54
	v_mul_u32_u24_e32 v28, 0x97b5, v30
	s_delay_alu instid0(VALU_DEP_3) | instskip(NEXT) | instid1(VALU_DEP_3)
	v_sub_nc_u16 v33, v114, v31
	v_sub_nc_u16 v49, v24, v32
	s_delay_alu instid0(VALU_DEP_3) | instskip(NEXT) | instid1(VALU_DEP_3)
	v_lshrrev_b32_e32 v54, 20, v28
	v_and_b32_e32 v55, 0xff, v33
	ds_load_2addr_b64 v[32:35], v132 offset0:116 offset1:242
	v_and_b32_e32 v29, 0xffff, v40
	v_and_b32_e32 v30, 0xffff, v41
	v_mul_lo_u16 v40, v54, 54
	v_and_b32_e32 v57, 0xff, v49
	s_delay_alu instid0(VALU_DEP_2)
	v_sub_nc_u16 v56, v27, v40
	ds_load_2addr_b64 v[40:43], v25 offset0:120 offset1:246
	v_and_b32_e32 v27, 0xffff, v44
	v_lshlrev_b16 v44, 4, v56
	s_wait_loadcnt_dscnt 0x201
	v_mul_f32_e32 v60, v33, v39
	v_mul_u32_u24_e32 v47, 54, v29
	v_mul_f32_e32 v61, v32, v39
	v_mul_u32_u24_e32 v48, 54, v30
	ds_load_2addr_b64 v[28:31], v26 offset0:124 offset1:250
	v_add_lshl_u32 v128, v47, v45, 3
	s_wait_loadcnt 0x1
	v_mul_f32_e32 v66, v35, v23
	s_wait_loadcnt_dscnt 0x1
	v_mul_f32_e32 v68, v43, v17
	v_add_lshl_u32 v127, v48, v46, 3
	ds_load_b64 v[48:49], v113 offset:8064
	v_mul_f32_e32 v67, v34, v23
	v_fmac_f32_e32 v61, v33, v38
	v_fma_f32 v33, v42, v16, -v68
	v_mul_f32_e32 v63, v40, v21
	v_fma_f32 v34, v34, v22, -v66
	v_dual_fmac_f32 v67, v35, v22 :: v_dual_lshlrev_b32 v126, 3, v27
	v_mul_f32_e32 v62, v41, v21
	s_delay_alu instid0(VALU_DEP_4) | instskip(SKIP_4) | instid1(VALU_DEP_3)
	v_dual_fmac_f32 v63, v41, v20 :: v_dual_lshlrev_b32 v50, 4, v55
	s_wait_dscnt 0x1
	v_mul_f32_e32 v59, v30, v37
	v_add_f32_e32 v68, v28, v33
	v_mul_f32_e32 v51, v31, v37
	v_fmac_f32_e32 v59, v31, v36
	v_and_b32_e32 v27, 0xffff, v44
	ds_load_2addr_b64 v[44:47], v113 offset1:126
	s_wait_dscnt 0x1
	v_mul_f32_e32 v70, v49, v19
	v_fma_f32 v30, v30, v36, -v51
	v_fma_f32 v31, v32, v38, -v60
	;; [unrolled: 1-line block ×3, first 2 shown]
	v_mul_f32_e32 v69, v42, v17
	v_fma_f32 v40, v48, v18, -v70
	v_mul_f32_e32 v71, v48, v19
	s_delay_alu instid0(VALU_DEP_4) | instskip(SKIP_1) | instid1(VALU_DEP_4)
	v_dual_add_f32 v41, v30, v31 :: v_dual_sub_f32 v66, v32, v34
	v_lshlrev_b32_e32 v58, 4, v57
	v_add_f32_e32 v70, v33, v40
	v_sub_f32_e32 v74, v33, v40
	v_dual_fmac_f32 v71, v49, v18 :: v_dual_add_f32 v40, v68, v40
	global_wb scope:SCOPE_SE
	s_wait_dscnt 0x0
	v_fma_f32 v28, -0.5, v70, v28
	v_sub_f32_e32 v49, v30, v31
	s_barrier_signal -1
	s_barrier_wait -1
	v_dual_add_f32 v35, v44, v30 :: v_dual_add_f32 v42, v45, v59
	v_dual_add_f32 v51, v46, v32 :: v_dual_add_f32 v62, v47, v63
	v_fmac_f32_e32 v69, v43, v16
	s_delay_alu instid0(VALU_DEP_3) | instskip(SKIP_4) | instid1(VALU_DEP_3)
	v_add_f32_e32 v30, v35, v31
	v_sub_f32_e32 v43, v59, v61
	v_dual_add_f32 v48, v59, v61 :: v_dual_add_f32 v59, v32, v34
	v_fma_f32 v32, -0.5, v41, v44
	v_dual_add_f32 v31, v42, v61 :: v_dual_add_f32 v34, v51, v34
	v_fma_f32 v33, -0.5, v48, v45
	v_add_co_u32 v27, s0, s2, v27
	s_delay_alu instid0(VALU_DEP_4)
	v_fmamk_f32 v42, v43, 0x3f5db3d7, v32
	v_fmac_f32_e32 v32, 0xbf5db3d7, v43
	v_sub_f32_e32 v72, v69, v71
	v_sub_f32_e32 v60, v63, v67
	v_add_f32_e32 v63, v63, v67
	v_add_f32_e32 v73, v29, v69
	s_delay_alu instid0(VALU_DEP_4) | instskip(SKIP_3) | instid1(VALU_DEP_4)
	v_dual_add_f32 v69, v69, v71 :: v_dual_fmamk_f32 v48, v72, 0x3f5db3d7, v28
	v_fmac_f32_e32 v28, 0xbf5db3d7, v72
	v_fma_f32 v46, -0.5, v59, v46
	v_fmac_f32_e32 v47, -0.5, v63
	v_fmac_f32_e32 v29, -0.5, v69
	v_fmamk_f32 v43, v49, 0xbf5db3d7, v33
	v_fmac_f32_e32 v33, 0x3f5db3d7, v49
	v_dual_add_f32 v35, v62, v67 :: v_dual_fmamk_f32 v44, v60, 0x3f5db3d7, v46
	v_dual_fmamk_f32 v45, v66, 0xbf5db3d7, v47 :: v_dual_fmac_f32 v46, 0xbf5db3d7, v60
	v_fmac_f32_e32 v47, 0x3f5db3d7, v66
	v_add_f32_e32 v41, v73, v71
	v_fmamk_f32 v49, v74, 0xbf5db3d7, v29
	global_inv scope:SCOPE_SE
	v_fmac_f32_e32 v29, 0x3f5db3d7, v74
	ds_store_2addr_b64 v128, v[30:31], v[42:43] offset1:18
	ds_store_b64 v128, v[32:33] offset:288
	ds_store_2addr_b64 v127, v[34:35], v[44:45] offset1:18
	ds_store_b64 v127, v[46:47] offset:288
	;; [unrolled: 2-line block ×3, first 2 shown]
	s_wait_alu 0xf1ff
	v_add_co_ci_u32_e64 v28, null, s3, 0, s0
	global_wb scope:SCOPE_SE
	s_wait_dscnt 0x0
	s_barrier_signal -1
	s_barrier_wait -1
	global_inv scope:SCOPE_SE
	s_clause 0x2
	global_load_b128 v[48:51], v50, s[2:3] offset:416
	global_load_b128 v[44:47], v58, s[2:3] offset:416
	global_load_b128 v[40:43], v[27:28], off offset:416
	ds_load_2addr_b64 v[30:33], v25 offset0:120 offset1:246
	ds_load_2addr_b64 v[68:71], v26 offset0:124 offset1:250
	v_and_b32_e32 v34, 0xffff, v52
	ds_load_2addr_b64 v[26:29], v132 offset0:116 offset1:242
	v_mad_u16 v52, 0xa2, v54, v56
	v_cmp_gt_u16_e64 s0, 36, v114
	s_wait_loadcnt_dscnt 0x200
	s_delay_alu instid0(VALU_DEP_2)
	v_dual_mul_f32 v59, v26, v51 :: v_dual_and_b32 v52, 0xffff, v52
	s_wait_loadcnt 0x0
	v_mul_f32_e32 v67, v32, v41
	v_mul_f32_e32 v60, v31, v45
	;; [unrolled: 1-line block ×3, first 2 shown]
	v_dual_mul_f32 v66, v33, v41 :: v_dual_fmac_f32 v59, v27, v50
	s_delay_alu instid0(VALU_DEP_4)
	v_fmac_f32_e32 v67, v33, v40
	v_and_b32_e32 v35, 0xffff, v53
	v_mul_u32_u24_e32 v53, 0xa2, v34
	v_mul_f32_e32 v56, v71, v49
	v_mul_f32_e32 v58, v27, v51
	v_add_f32_e32 v74, v69, v67
	v_mul_u32_u24_e32 v54, 0xa2, v35
	ds_load_b64 v[34:35], v113 offset:8064
	v_add_lshl_u32 v131, v53, v55, 3
	v_mul_f32_e32 v63, v28, v47
	v_fma_f32 v27, v30, v44, -v60
	v_add_lshl_u32 v130, v54, v57, 3
	v_mul_f32_e32 v57, v70, v49
	v_fma_f32 v56, v70, v48, -v56
	v_fma_f32 v26, v26, v50, -v58
	s_delay_alu instid0(VALU_DEP_3) | instskip(SKIP_3) | instid1(VALU_DEP_2)
	v_fmac_f32_e32 v57, v71, v48
	s_wait_dscnt 0x0
	v_mul_f32_e32 v73, v34, v43
	v_mul_f32_e32 v72, v35, v43
	v_fmac_f32_e32 v73, v35, v42
	v_lshlrev_b32_e32 v129, 3, v52
	ds_load_2addr_b64 v[52:55], v113 offset1:126
	v_sub_f32_e32 v35, v57, v59
	v_mul_f32_e32 v61, v30, v45
	v_fma_f32 v30, v28, v46, -v62
	v_fma_f32 v28, v32, v40, -v66
	;; [unrolled: 1-line block ×3, first 2 shown]
	s_delay_alu instid0(VALU_DEP_4) | instskip(SKIP_1) | instid1(VALU_DEP_4)
	v_dual_add_f32 v34, v57, v59 :: v_dual_fmac_f32 v61, v31, v44
	v_add_f32_e32 v31, v56, v26
	v_add_f32_e32 v70, v68, v28
	s_delay_alu instid0(VALU_DEP_4) | instskip(SKIP_2) | instid1(VALU_DEP_4)
	v_add_f32_e32 v71, v28, v32
	v_dual_sub_f32 v75, v28, v32 :: v_dual_add_f32 v58, v27, v30
	v_sub_f32_e32 v72, v67, v73
	v_dual_add_f32 v32, v70, v32 :: v_dual_fmac_f32 v63, v29, v46
	v_add_f32_e32 v67, v67, v73
	v_sub_f32_e32 v66, v27, v30
	v_fma_f32 v68, -0.5, v71, v68
	global_wb scope:SCOPE_SE
	s_wait_dscnt 0x0
	v_dual_add_f32 v29, v52, v56 :: v_dual_sub_f32 v60, v61, v63
	v_dual_add_f32 v62, v55, v61 :: v_dual_add_f32 v61, v61, v63
	v_add_nc_u32_e32 v133, 0x800, v113
	v_dual_add_f32 v33, v53, v57 :: v_dual_sub_f32 v56, v56, v26
	s_delay_alu instid0(VALU_DEP_4)
	v_add_f32_e32 v26, v29, v26
	v_fma_f32 v28, -0.5, v31, v52
	v_fma_f32 v29, -0.5, v34, v53
	v_fmac_f32_e32 v55, -0.5, v61
	v_add_f32_e32 v57, v54, v27
	v_fma_f32 v54, -0.5, v58, v54
	v_dual_fmac_f32 v69, -0.5, v67 :: v_dual_fmamk_f32 v34, v35, 0x3f5db3d7, v28
	v_dual_fmac_f32 v28, 0xbf5db3d7, v35 :: v_dual_fmamk_f32 v35, v56, 0xbf5db3d7, v29
	v_fmamk_f32 v53, v66, 0xbf5db3d7, v55
	v_dual_fmac_f32 v55, 0x3f5db3d7, v66 :: v_dual_fmamk_f32 v66, v72, 0x3f5db3d7, v68
	v_dual_fmac_f32 v68, 0xbf5db3d7, v72 :: v_dual_add_f32 v27, v33, v59
	v_dual_fmac_f32 v29, 0x3f5db3d7, v56 :: v_dual_add_f32 v30, v57, v30
	v_dual_add_f32 v31, v62, v63 :: v_dual_fmamk_f32 v52, v60, 0x3f5db3d7, v54
	v_dual_fmac_f32 v54, 0xbf5db3d7, v60 :: v_dual_add_f32 v33, v74, v73
	v_fmamk_f32 v67, v75, 0xbf5db3d7, v69
	s_barrier_signal -1
	s_barrier_wait -1
	global_inv scope:SCOPE_SE
	v_fmac_f32_e32 v69, 0x3f5db3d7, v75
	ds_store_2addr_b64 v131, v[26:27], v[34:35] offset1:54
	ds_store_b64 v131, v[28:29] offset:864
	ds_store_2addr_b64 v130, v[30:31], v[52:53] offset1:54
	ds_store_b64 v130, v[54:55] offset:864
	;; [unrolled: 2-line block ×3, first 2 shown]
	global_wb scope:SCOPE_SE
	s_wait_dscnt 0x0
	s_barrier_signal -1
	s_barrier_wait -1
	global_inv scope:SCOPE_SE
	ds_load_2addr_b64 v[70:73], v113 offset1:162
	ds_load_2addr_b64 v[86:89], v133 offset0:68 offset1:230
	ds_load_2addr_b64 v[82:85], v132 offset0:8 offset1:170
	ds_load_b64 v[111:112], v113 offset:7776
	s_and_saveexec_b32 s1, s0
	s_cbranch_execz .LBB0_9
; %bb.8:
	v_add_nc_u32_e32 v26, 0x200, v113
	ds_load_2addr_b64 v[74:77], v25 offset0:66 offset1:228
	ds_load_2addr_b64 v[66:69], v26 offset0:62 offset1:224
	s_wait_dscnt 0x1
	v_dual_mov_b32 v64, v74 :: v_dual_add_nc_u32 v25, 0x1800, v113
	ds_load_b64 v[109:110], v113 offset:8784
	ds_load_2addr_b64 v[78:81], v25 offset0:6 offset1:168
	v_mov_b32_e32 v65, v75
.LBB0_9:
	s_wait_alu 0xfffe
	s_or_b32 exec_lo, exec_lo, s1
	v_mad_co_u64_u32 v[25:26], null, v114, 48, s[2:3]
	s_clause 0x2
	global_load_b128 v[60:63], v[25:26], off offset:1280
	global_load_b128 v[56:59], v[25:26], off offset:1296
	;; [unrolled: 1-line block ×3, first 2 shown]
	v_subrev_nc_u32_e32 v25, 36, v114
	s_delay_alu instid0(VALU_DEP_1) | instskip(NEXT) | instid1(VALU_DEP_1)
	v_cndmask_b32_e64 v24, v25, v24, s0
	v_mul_i32_i24_e32 v25, 48, v24
	v_mul_hi_i32_i24_e32 v24, 48, v24
	s_delay_alu instid0(VALU_DEP_2) | instskip(SKIP_1) | instid1(VALU_DEP_2)
	v_add_co_u32 v32, s1, s2, v25
	s_wait_alu 0xf1ff
	v_add_co_ci_u32_e64 v33, s1, s3, v24, s1
	s_clause 0x2
	global_load_b128 v[28:31], v[32:33], off offset:1280
	global_load_b128 v[24:27], v[32:33], off offset:1296
	global_load_b128 v[32:35], v[32:33], off offset:1312
	s_wait_loadcnt_dscnt 0x502
	v_dual_mul_f32 v74, v73, v61 :: v_dual_mul_f32 v135, v86, v63
	v_dual_mul_f32 v75, v72, v61 :: v_dual_mul_f32 v134, v87, v63
	s_wait_loadcnt_dscnt 0x401
	v_dual_mul_f32 v136, v89, v57 :: v_dual_mul_f32 v139, v82, v59
	s_wait_loadcnt_dscnt 0x300
	v_dual_mul_f32 v140, v85, v53 :: v_dual_mul_f32 v143, v111, v55
	v_dual_mul_f32 v142, v112, v55 :: v_dual_fmac_f32 v75, v73, v60
	v_dual_mul_f32 v137, v88, v57 :: v_dual_mul_f32 v138, v83, v59
	v_fma_f32 v72, v72, v60, -v74
	v_fma_f32 v73, v86, v62, -v134
	s_delay_alu instid0(VALU_DEP_4)
	v_fma_f32 v86, v111, v54, -v142
	v_fmac_f32_e32 v139, v83, v58
	v_fma_f32 v83, v84, v52, -v140
	v_mul_f32_e32 v141, v84, v53
	v_fmac_f32_e32 v135, v87, v62
	v_fma_f32 v74, v88, v56, -v136
	v_dual_fmac_f32 v137, v89, v56 :: v_dual_add_f32 v84, v72, v86
	v_fma_f32 v82, v82, v58, -v138
	s_wait_loadcnt 0x2
	v_dual_mul_f32 v134, v65, v31 :: v_dual_fmac_f32 v143, v112, v54
	v_sub_f32_e32 v72, v72, v86
	v_add_f32_e32 v86, v73, v83
	v_dual_fmac_f32 v141, v85, v52 :: v_dual_add_f32 v88, v74, v82
	v_sub_f32_e32 v73, v73, v83
	s_delay_alu instid0(VALU_DEP_3)
	v_dual_add_f32 v89, v137, v139 :: v_dual_sub_f32 v146, v86, v84
	v_sub_f32_e32 v74, v82, v74
	v_sub_f32_e32 v82, v139, v137
	s_wait_loadcnt 0x1
	v_dual_add_f32 v85, v75, v143 :: v_dual_mul_f32 v136, v77, v25
	v_mul_f32_e32 v112, v68, v29
	v_add_f32_e32 v87, v135, v141
	v_sub_f32_e32 v75, v75, v143
	s_wait_loadcnt 0x0
	v_dual_sub_f32 v83, v135, v141 :: v_dual_mul_f32 v142, v110, v35
	v_dual_mul_f32 v111, v69, v29 :: v_dual_mul_f32 v138, v79, v27
	v_dual_mul_f32 v135, v64, v31 :: v_dual_mul_f32 v140, v81, v33
	v_mul_f32_e32 v137, v76, v25
	v_dual_mul_f32 v141, v80, v33 :: v_dual_fmac_f32 v112, v69, v28
	v_dual_mul_f32 v143, v109, v35 :: v_dual_add_f32 v144, v86, v84
	v_dual_sub_f32 v86, v88, v86 :: v_dual_add_f32 v145, v87, v85
	v_sub_f32_e32 v152, v72, v74
	v_add_f32_e32 v148, v74, v73
	v_sub_f32_e32 v147, v87, v85
	v_dual_sub_f32 v87, v89, v87 :: v_dual_sub_f32 v150, v74, v73
	v_dual_mul_f32 v139, v78, v27 :: v_dual_sub_f32 v84, v84, v88
	v_sub_f32_e32 v85, v85, v89
	v_add_f32_e32 v149, v82, v83
	v_dual_sub_f32 v151, v82, v83 :: v_dual_sub_f32 v82, v75, v82
	v_sub_f32_e32 v73, v73, v72
	v_sub_f32_e32 v83, v83, v75
	v_fma_f32 v68, v68, v28, -v111
	v_fma_f32 v64, v64, v30, -v134
	;; [unrolled: 1-line block ×4, first 2 shown]
	v_fmac_f32_e32 v143, v110, v34
	v_fmac_f32_e32 v137, v77, v24
	v_fmac_f32_e32 v141, v81, v32
	v_dual_add_f32 v77, v88, v144 :: v_dual_mul_f32 v88, 0xbf08b237, v150
	v_dual_fmac_f32 v135, v65, v30 :: v_dual_mul_f32 v110, 0x3f5ff5aa, v83
	v_fma_f32 v65, v76, v24, -v136
	v_fma_f32 v76, v109, v34, -v142
	v_dual_fmac_f32 v139, v79, v26 :: v_dual_add_f32 v78, v89, v145
	v_dual_add_f32 v79, v149, v75 :: v_dual_mul_f32 v80, 0x3f4a47b2, v84
	v_mul_f32_e32 v81, 0x3f4a47b2, v85
	s_delay_alu instid0(VALU_DEP_4)
	v_dual_mul_f32 v84, 0x3d64c772, v86 :: v_dual_add_f32 v111, v68, v76
	v_sub_f32_e32 v68, v68, v76
	v_sub_f32_e32 v76, v112, v143
	v_add_f32_e32 v136, v135, v141
	v_add_f32_e32 v134, v112, v143
	v_mul_f32_e32 v89, 0xbf08b237, v151
	v_dual_mul_f32 v109, 0x3f5ff5aa, v73 :: v_dual_add_f32 v140, v137, v139
	v_add_f32_e32 v112, v64, v74
	v_dual_sub_f32 v64, v64, v74 :: v_dual_sub_f32 v135, v135, v141
	v_dual_add_f32 v138, v65, v69 :: v_dual_mul_f32 v85, 0x3d64c772, v87
	v_dual_add_f32 v74, v70, v77 :: v_dual_add_f32 v75, v71, v78
	v_dual_fmamk_f32 v70, v86, 0x3d64c772, v80 :: v_dual_sub_f32 v65, v69, v65
	v_sub_f32_e32 v69, v139, v137
	v_fmamk_f32 v71, v87, 0x3d64c772, v81
	v_fmamk_f32 v86, v82, 0x3eae86e6, v89
	v_fma_f32 v83, 0x3f5ff5aa, v83, -v89
	v_fma_f32 v89, 0xbeae86e6, v152, -v109
	;; [unrolled: 1-line block ×3, first 2 shown]
	v_sub_f32_e32 v110, v112, v111
	v_dual_fmamk_f32 v87, v152, 0x3eae86e6, v88 :: v_dual_sub_f32 v142, v65, v64
	v_fma_f32 v88, 0x3f5ff5aa, v73, -v88
	v_add_f32_e32 v73, v112, v111
	v_add_f32_e32 v72, v148, v72
	;; [unrolled: 1-line block ×3, first 2 shown]
	v_dual_sub_f32 v137, v136, v134 :: v_dual_fmac_f32 v86, 0x3ee1c552, v79
	v_dual_sub_f32 v111, v111, v138 :: v_dual_sub_f32 v134, v134, v140
	v_dual_sub_f32 v112, v138, v112 :: v_dual_add_f32 v141, v69, v135
	v_fmac_f32_e32 v88, 0x3ee1c552, v72
	v_dual_fmamk_f32 v78, v78, 0xbf955555, v75 :: v_dual_add_f32 v139, v65, v64
	v_dual_add_f32 v138, v138, v73 :: v_dual_fmamk_f32 v77, v77, 0xbf955555, v74
	v_fma_f32 v84, 0x3f3bfb3b, v146, -v84
	v_fma_f32 v80, 0xbf3bfb3b, v146, -v80
	v_dual_sub_f32 v136, v140, v136 :: v_dual_sub_f32 v143, v69, v135
	v_add_f32_e32 v140, v140, v82
	v_sub_f32_e32 v65, v68, v65
	v_sub_f32_e32 v64, v64, v68
	v_dual_add_f32 v68, v139, v68 :: v_dual_sub_f32 v69, v76, v69
	v_sub_f32_e32 v135, v135, v76
	v_fmac_f32_e32 v87, 0x3ee1c552, v72
	v_fmac_f32_e32 v89, 0x3ee1c552, v72
	v_dual_add_f32 v139, v141, v76 :: v_dual_mul_f32 v76, 0x3f4a47b2, v111
	v_dual_mul_f32 v82, 0x3d64c772, v112 :: v_dual_add_f32 v71, v71, v78
	v_add_f32_e32 v72, v66, v138
	v_add_f32_e32 v70, v70, v77
	v_fma_f32 v85, 0x3f3bfb3b, v147, -v85
	v_fma_f32 v81, 0xbf3bfb3b, v147, -v81
	v_dual_fmac_f32 v83, 0x3ee1c552, v79 :: v_dual_add_f32 v84, v84, v77
	v_fmac_f32_e32 v109, 0x3ee1c552, v79
	v_mul_f32_e32 v111, 0x3d64c772, v136
	v_dual_mul_f32 v141, 0xbf08b237, v143 :: v_dual_add_f32 v144, v80, v77
	v_fmamk_f32 v66, v112, 0x3d64c772, v76
	v_fma_f32 v112, 0x3f3bfb3b, v110, -v82
	v_add_f32_e32 v82, v83, v84
	v_fma_f32 v110, 0xbf3bfb3b, v110, -v76
	v_add_f32_e32 v76, v86, v70
	v_mul_f32_e32 v79, 0x3f4a47b2, v134
	v_mul_f32_e32 v134, 0xbf08b237, v142
	v_dual_mul_f32 v142, 0x3f5ff5aa, v64 :: v_dual_mul_f32 v143, 0x3f5ff5aa, v135
	v_add_f32_e32 v85, v85, v78
	v_add_f32_e32 v145, v81, v78
	v_dual_add_f32 v73, v67, v140 :: v_dual_fmamk_f32 v146, v69, 0x3eae86e6, v141
	v_fma_f32 v135, 0x3f5ff5aa, v135, -v141
	v_fma_f32 v141, 0xbeae86e6, v65, -v142
	;; [unrolled: 1-line block ×3, first 2 shown]
	v_dual_add_f32 v78, v109, v144 :: v_dual_fmamk_f32 v67, v136, 0x3d64c772, v79
	v_sub_f32_e32 v86, v70, v86
	v_fma_f32 v136, 0xbf3bfb3b, v137, -v79
	v_sub_f32_e32 v80, v84, v83
	v_fma_f32 v111, 0x3f3bfb3b, v137, -v111
	v_fmamk_f32 v137, v65, 0x3eae86e6, v134
	v_fma_f32 v134, 0x3f5ff5aa, v64, -v134
	v_dual_fmamk_f32 v64, v138, 0xbf955555, v72 :: v_dual_sub_f32 v77, v71, v87
	v_dual_sub_f32 v79, v145, v89 :: v_dual_fmac_f32 v146, 0x3ee1c552, v139
	v_sub_f32_e32 v84, v144, v109
	v_dual_add_f32 v81, v88, v85 :: v_dual_fmac_f32 v142, 0x3ee1c552, v139
	s_delay_alu instid0(VALU_DEP_4) | instskip(SKIP_3) | instid1(VALU_DEP_4)
	v_dual_add_f32 v87, v87, v71 :: v_dual_add_f32 v70, v110, v64
	v_fmamk_f32 v65, v140, 0xbf955555, v73
	v_fmac_f32_e32 v135, 0x3ee1c552, v139
	v_fmac_f32_e32 v141, 0x3ee1c552, v68
	v_dual_fmac_f32 v134, 0x3ee1c552, v68 :: v_dual_add_f32 v109, v142, v70
	s_delay_alu instid0(VALU_DEP_4) | instskip(SKIP_4) | instid1(VALU_DEP_3)
	v_dual_sub_f32 v70, v70, v142 :: v_dual_add_f32 v71, v136, v65
	v_sub_f32_e32 v83, v85, v88
	v_dual_add_f32 v88, v66, v64 :: v_dual_add_f32 v85, v89, v145
	v_fmac_f32_e32 v137, 0x3ee1c552, v68
	v_add_f32_e32 v68, v112, v64
	v_dual_add_f32 v64, v146, v88 :: v_dual_add_f32 v89, v67, v65
	s_delay_alu instid0(VALU_DEP_2) | instskip(SKIP_1) | instid1(VALU_DEP_3)
	v_dual_add_f32 v69, v111, v65 :: v_dual_sub_f32 v66, v68, v135
	v_add_f32_e32 v68, v135, v68
	v_dual_sub_f32 v88, v88, v146 :: v_dual_sub_f32 v65, v89, v137
	v_sub_f32_e32 v110, v71, v141
	s_delay_alu instid0(VALU_DEP_4)
	v_add_f32_e32 v67, v134, v69
	v_sub_f32_e32 v69, v69, v134
	v_add_f32_e32 v71, v141, v71
	v_add_f32_e32 v89, v137, v89
	ds_store_2addr_b64 v113, v[74:75], v[76:77] offset1:162
	ds_store_2addr_b64 v133, v[78:79], v[80:81] offset0:68 offset1:230
	ds_store_2addr_b64 v132, v[82:83], v[84:85] offset0:8 offset1:170
	ds_store_b64 v113, v[86:87] offset:7776
	s_and_saveexec_b32 s1, s0
	s_cbranch_execz .LBB0_11
; %bb.10:
	v_add_nc_u32_e32 v74, 0x200, v113
	v_add_nc_u32_e32 v75, 0xc00, v113
	v_add_nc_u32_e32 v76, 0x1800, v113
	ds_store_2addr_b64 v74, v[72:73], v[64:65] offset0:62 offset1:224
	ds_store_2addr_b64 v75, v[109:110], v[66:67] offset0:66 offset1:228
	;; [unrolled: 1-line block ×3, first 2 shown]
	ds_store_b64 v113, v[88:89] offset:8784
.LBB0_11:
	s_wait_alu 0xfffe
	s_or_b32 exec_lo, exec_lo, s1
	global_wb scope:SCOPE_SE
	s_wait_dscnt 0x0
	s_barrier_signal -1
	s_barrier_wait -1
	global_inv scope:SCOPE_SE
	global_load_b64 v[76:77], v[91:92], off offset:9072
	s_add_nc_u64 s[2:3], s[16:17], 0x2370
	s_clause 0x6
	global_load_b64 v[78:79], v113, s[2:3] offset:1008
	global_load_b64 v[85:86], v113, s[2:3] offset:4536
	;; [unrolled: 1-line block ×7, first 2 shown]
	ds_load_2addr_b64 v[72:75], v113 offset1:126
	s_wait_loadcnt_dscnt 0x700
	v_mul_f32_e32 v80, v73, v77
	v_mul_f32_e32 v81, v72, v77
	v_add_nc_u32_e32 v77, 0x1000, v113
	s_delay_alu instid0(VALU_DEP_2)
	v_fmac_f32_e32 v81, v73, v76
	s_wait_loadcnt 0x6
	v_mul_f32_e32 v73, v74, v79
	v_fma_f32 v80, v72, v76, -v80
	v_add_nc_u32_e32 v76, 0x400, v113
	v_mul_f32_e32 v72, v75, v79
	s_delay_alu instid0(VALU_DEP_4)
	v_fmac_f32_e32 v73, v75, v78
	ds_store_b64 v113, v[80:81]
	v_add_nc_u32_e32 v80, 0x1800, v113
	ds_load_2addr_b64 v[81:84], v77 offset0:55 offset1:181
	ds_load_2addr_b64 v[132:135], v76 offset0:124 offset1:250
	;; [unrolled: 1-line block ×3, first 2 shown]
	v_add_nc_u32_e32 v148, 0xa00, v113
	v_fma_f32 v72, v74, v78, -v72
	s_wait_loadcnt_dscnt 0x402
	v_dual_mul_f32 v78, v84, v112 :: v_dual_add_nc_u32 v87, 0x1400, v113
	v_mul_f32_e32 v74, v82, v86
	v_mul_f32_e32 v75, v81, v86
	s_wait_loadcnt_dscnt 0x301
	v_dual_mul_f32 v79, v83, v112 :: v_dual_mul_f32 v86, v132, v141
	s_wait_loadcnt_dscnt 0x200
	v_dual_mul_f32 v149, v133, v141 :: v_dual_mul_f32 v112, v136, v143
	s_wait_loadcnt 0x1
	v_dual_mul_f32 v150, v137, v143 :: v_dual_mul_f32 v151, v135, v145
	v_dual_mul_f32 v141, v134, v145 :: v_dual_fmac_f32 v86, v133, v140
	s_wait_loadcnt 0x0
	v_dual_mul_f32 v145, v139, v147 :: v_dual_fmac_f32 v112, v137, v142
	v_mul_f32_e32 v143, v138, v147
	v_fma_f32 v74, v81, v85, -v74
	v_fmac_f32_e32 v75, v82, v85
	v_fma_f32 v85, v132, v140, -v149
	v_fma_f32 v78, v83, v111, -v78
	v_fmac_f32_e32 v79, v84, v111
	v_fma_f32 v111, v136, v142, -v150
	;; [unrolled: 3-line block ×3, first 2 shown]
	v_fmac_f32_e32 v143, v139, v146
	ds_store_2addr_b64 v113, v[72:73], v[85:86] offset0:126 offset1:252
	ds_store_2addr_b64 v87, v[78:79], v[111:112] offset0:53 offset1:179
	ds_store_2addr_b64 v148, v[140:141], v[74:75] offset0:58 offset1:247
	ds_store_b64 v113, v[142:143] offset:7560
	s_and_saveexec_b32 s1, vcc_lo
	s_cbranch_execz .LBB0_13
; %bb.12:
	s_wait_alu 0xfffe
	v_add_co_u32 v72, s2, s2, v113
	s_wait_alu 0xf1ff
	v_add_co_ci_u32_e64 v73, null, s3, 0, s2
	s_clause 0x1
	global_load_b64 v[74:75], v[72:73], off offset:4032
	global_load_b64 v[72:73], v[72:73], off offset:8568
	ds_load_b64 v[78:79], v113 offset:4032
	ds_load_b64 v[81:82], v113 offset:8568
	s_wait_loadcnt_dscnt 0x101
	v_mul_f32_e32 v83, v79, v75
	s_wait_loadcnt_dscnt 0x0
	v_dual_mul_f32 v84, v78, v75 :: v_dual_mul_f32 v75, v81, v73
	v_mul_f32_e32 v85, v82, v73
	s_delay_alu instid0(VALU_DEP_3) | instskip(NEXT) | instid1(VALU_DEP_3)
	v_fma_f32 v83, v78, v74, -v83
	v_dual_fmac_f32 v84, v79, v74 :: v_dual_fmac_f32 v75, v82, v72
	s_delay_alu instid0(VALU_DEP_3)
	v_fma_f32 v74, v81, v72, -v85
	ds_store_b64 v113, v[83:84] offset:4032
	ds_store_b64 v113, v[74:75] offset:8568
.LBB0_13:
	s_wait_alu 0xfffe
	s_or_b32 exec_lo, exec_lo, s1
	global_wb scope:SCOPE_SE
	s_wait_dscnt 0x0
	s_barrier_signal -1
	s_barrier_wait -1
	global_inv scope:SCOPE_SE
	ds_load_2addr_b64 v[72:75], v113 offset1:126
	ds_load_2addr_b64 v[84:87], v77 offset0:55 offset1:181
	ds_load_2addr_b64 v[76:79], v76 offset0:124 offset1:250
	;; [unrolled: 1-line block ×3, first 2 shown]
	v_add_nc_u32_e32 v111, 0x17a0, v119
	s_and_saveexec_b32 s1, vcc_lo
	s_cbranch_execz .LBB0_15
; %bb.14:
	ds_load_b64 v[64:65], v113 offset:4032
	ds_load_b64 v[109:110], v113 offset:8568
.LBB0_15:
	s_wait_alu 0xfffe
	s_or_b32 exec_lo, exec_lo, s1
	s_wait_dscnt 0x2
	v_dual_sub_f32 v134, v72, v84 :: v_dual_sub_f32 v135, v73, v85
	v_dual_sub_f32 v86, v74, v86 :: v_dual_sub_f32 v87, v75, v87
	s_wait_dscnt 0x0
	v_dual_sub_f32 v138, v76, v80 :: v_dual_sub_f32 v139, v77, v81
	v_dual_sub_f32 v80, v78, v82 :: v_dual_sub_f32 v81, v79, v83
	v_fma_f32 v132, v72, 2.0, -v134
	v_fma_f32 v133, v73, 2.0, -v135
	;; [unrolled: 1-line block ×4, first 2 shown]
	v_dual_sub_f32 v74, v64, v109 :: v_dual_sub_f32 v75, v65, v110
	v_fma_f32 v136, v76, 2.0, -v138
	v_fma_f32 v137, v77, 2.0, -v139
	;; [unrolled: 1-line block ×4, first 2 shown]
	global_wb scope:SCOPE_SE
	s_barrier_signal -1
	s_barrier_wait -1
	global_inv scope:SCOPE_SE
	ds_store_b128 v116, v[132:135]
	ds_store_b128 v117, v[84:87]
	;; [unrolled: 1-line block ×4, first 2 shown]
	s_and_saveexec_b32 s1, vcc_lo
	s_cbranch_execz .LBB0_17
; %bb.16:
	v_fma_f32 v73, v65, 2.0, -v75
	v_fma_f32 v72, v64, 2.0, -v74
	ds_store_b128 v115, v[72:75]
.LBB0_17:
	s_wait_alu 0xfffe
	s_or_b32 exec_lo, exec_lo, s1
	global_wb scope:SCOPE_SE
	s_wait_dscnt 0x0
	s_barrier_signal -1
	s_barrier_wait -1
	global_inv scope:SCOPE_SE
	ds_load_b64 v[115:116], v113 offset:8064
	v_add_nc_u32_e32 v65, 0x400, v113
	v_add_nc_u32_e32 v72, 0x1400, v113
	s_wait_dscnt 0x0
	v_dual_mul_f32 v117, v3, v115 :: v_dual_add_nc_u32 v64, 0xc00, v113
	v_mul_f32_e32 v73, v3, v116
	ds_load_2addr_b64 v[76:79], v65 offset0:124 offset1:250
	ds_load_2addr_b64 v[80:83], v72 offset0:116 offset1:242
	;; [unrolled: 1-line block ×3, first 2 shown]
	ds_load_2addr_b64 v[109:112], v113 offset1:126
	global_wb scope:SCOPE_SE
	s_wait_dscnt 0x0
	s_barrier_signal -1
	s_barrier_wait -1
	global_inv scope:SCOPE_SE
	v_mul_f32_e32 v118, v1, v79
	v_dual_mul_f32 v119, v1, v78 :: v_dual_mul_f32 v132, v3, v81
	v_dual_mul_f32 v133, v3, v80 :: v_dual_mul_f32 v134, v1, v85
	;; [unrolled: 1-line block ×3, first 2 shown]
	s_delay_alu instid0(VALU_DEP_3) | instskip(SKIP_1) | instid1(VALU_DEP_4)
	v_dual_mul_f32 v3, v3, v82 :: v_dual_fmac_f32 v132, v2, v80
	v_dual_mul_f32 v137, v1, v87 :: v_dual_fmac_f32 v118, v0, v78
	;; [unrolled: 1-line block ×3, first 2 shown]
	v_fma_f32 v78, v0, v79, -v119
	v_fma_f32 v79, v2, v81, -v133
	;; [unrolled: 1-line block ×4, first 2 shown]
	v_fmac_f32_e32 v137, v0, v86
	v_fma_f32 v84, v0, v87, -v1
	v_dual_add_f32 v1, v109, v118 :: v_dual_add_f32 v80, v78, v79
	v_fmac_f32_e32 v73, v2, v115
	v_fma_f32 v115, v2, v116, -v117
	v_sub_f32_e32 v3, v78, v79
	v_sub_f32_e32 v85, v118, v132
	v_fmac_f32_e32 v136, v2, v82
	v_dual_add_f32 v2, v118, v132 :: v_dual_add_f32 v87, v76, v137
	s_delay_alu instid0(VALU_DEP_1)
	v_fma_f32 v0, -0.5, v2, v109
	v_add_f32_e32 v2, v1, v132
	v_fma_f32 v1, -0.5, v80, v110
	v_add_f32_e32 v82, v110, v78
	v_add_f32_e32 v110, v77, v84
	v_fmamk_f32 v78, v3, 0xbf5db3d7, v0
	v_fmac_f32_e32 v0, 0x3f5db3d7, v3
	v_sub_f32_e32 v109, v84, v115
	v_add_f32_e32 v3, v82, v79
	v_dual_fmamk_f32 v79, v85, 0x3f5db3d7, v1 :: v_dual_add_f32 v80, v134, v136
	v_fmac_f32_e32 v1, 0xbf5db3d7, v85
	v_dual_add_f32 v85, v81, v83 :: v_dual_add_f32 v82, v111, v134
	v_sub_f32_e32 v86, v81, v83
	s_delay_alu instid0(VALU_DEP_4) | instskip(SKIP_1) | instid1(VALU_DEP_4)
	v_fma_f32 v111, -0.5, v80, v111
	v_add_f32_e32 v81, v112, v81
	v_dual_fmac_f32 v112, -0.5, v85 :: v_dual_sub_f32 v85, v134, v136
	v_add_f32_e32 v80, v82, v136
	s_delay_alu instid0(VALU_DEP_3) | instskip(SKIP_1) | instid1(VALU_DEP_4)
	v_dual_fmamk_f32 v82, v86, 0xbf5db3d7, v111 :: v_dual_add_f32 v81, v81, v83
	v_dual_fmac_f32 v111, 0x3f5db3d7, v86 :: v_dual_add_f32 v86, v137, v73
	v_fmamk_f32 v83, v85, 0x3f5db3d7, v112
	v_dual_fmac_f32 v112, 0xbf5db3d7, v85 :: v_dual_add_f32 v85, v84, v115
	v_sub_f32_e32 v116, v137, v73
	s_delay_alu instid0(VALU_DEP_4) | instskip(SKIP_1) | instid1(VALU_DEP_4)
	v_fma_f32 v76, -0.5, v86, v76
	v_add_f32_e32 v84, v87, v73
	v_fmac_f32_e32 v77, -0.5, v85
	s_delay_alu instid0(VALU_DEP_3) | instskip(NEXT) | instid1(VALU_DEP_2)
	v_dual_add_f32 v85, v110, v115 :: v_dual_fmamk_f32 v86, v109, 0xbf5db3d7, v76
	v_dual_fmac_f32 v76, 0x3f5db3d7, v109 :: v_dual_fmamk_f32 v87, v116, 0x3f5db3d7, v77
	v_fmac_f32_e32 v77, 0xbf5db3d7, v116
	ds_store_2addr_b64 v122, v[2:3], v[78:79] offset1:2
	ds_store_b64 v122, v[0:1] offset:32
	ds_store_2addr_b64 v121, v[80:81], v[82:83] offset1:2
	ds_store_b64 v121, v[111:112] offset:32
	;; [unrolled: 2-line block ×3, first 2 shown]
	global_wb scope:SCOPE_SE
	s_wait_dscnt 0x0
	s_barrier_signal -1
	s_barrier_wait -1
	global_inv scope:SCOPE_SE
	ds_load_2addr_b64 v[0:3], v65 offset0:124 offset1:250
	ds_load_2addr_b64 v[76:79], v72 offset0:116 offset1:242
	;; [unrolled: 1-line block ×3, first 2 shown]
	ds_load_b64 v[109:110], v113 offset:8064
	ds_load_2addr_b64 v[84:87], v113 offset1:126
	global_wb scope:SCOPE_SE
	s_wait_dscnt 0x0
	s_barrier_signal -1
	s_barrier_wait -1
	global_inv scope:SCOPE_SE
	v_mul_f32_e32 v73, v13, v3
	v_mul_f32_e32 v13, v13, v2
	s_delay_alu instid0(VALU_DEP_2) | instskip(NEXT) | instid1(VALU_DEP_2)
	v_dual_fmac_f32 v73, v12, v2 :: v_dual_mul_f32 v2, v15, v76
	v_fma_f32 v3, v12, v3, -v13
	v_mul_f32_e32 v12, v9, v81
	v_mul_f32_e32 v111, v15, v77
	;; [unrolled: 1-line block ×3, first 2 shown]
	v_fma_f32 v13, v14, v77, -v2
	v_mul_f32_e32 v2, v11, v78
	v_fmac_f32_e32 v12, v8, v80
	v_dual_fmac_f32 v111, v14, v76 :: v_dual_mul_f32 v76, v7, v110
	v_dual_mul_f32 v5, v5, v82 :: v_dual_mul_f32 v14, v11, v79
	v_mul_f32_e32 v9, v9, v80
	v_fma_f32 v11, v10, v79, -v2
	v_dual_mul_f32 v2, v7, v109 :: v_dual_fmac_f32 v15, v4, v82
	v_fmac_f32_e32 v76, v6, v109
	v_fma_f32 v77, v4, v83, -v5
	v_dual_add_f32 v4, v73, v111 :: v_dual_add_f32 v5, v84, v73
	v_fmac_f32_e32 v14, v10, v78
	v_fma_f32 v9, v8, v81, -v9
	v_sub_f32_e32 v8, v73, v111
	v_fma_f32 v78, v6, v110, -v2
	v_add_f32_e32 v6, v3, v13
	v_fma_f32 v2, -0.5, v4, v84
	v_dual_sub_f32 v7, v3, v13 :: v_dual_add_f32 v4, v5, v111
	v_add_f32_e32 v5, v85, v3
	s_delay_alu instid0(VALU_DEP_4) | instskip(SKIP_1) | instid1(VALU_DEP_4)
	v_fma_f32 v3, -0.5, v6, v85
	v_add_f32_e32 v10, v12, v14
	v_fmamk_f32 v6, v7, 0xbf5db3d7, v2
	s_delay_alu instid0(VALU_DEP_4) | instskip(NEXT) | instid1(VALU_DEP_4)
	v_dual_fmac_f32 v2, 0x3f5db3d7, v7 :: v_dual_add_f32 v5, v5, v13
	v_fmamk_f32 v7, v8, 0x3f5db3d7, v3
	v_add_f32_e32 v13, v86, v12
	v_fmac_f32_e32 v3, 0xbf5db3d7, v8
	v_dual_add_f32 v73, v9, v11 :: v_dual_sub_f32 v12, v12, v14
	v_fma_f32 v86, -0.5, v10, v86
	s_delay_alu instid0(VALU_DEP_4) | instskip(SKIP_1) | instid1(VALU_DEP_2)
	v_dual_add_f32 v8, v13, v14 :: v_dual_add_f32 v13, v15, v76
	v_add_f32_e32 v14, v0, v15
	v_fma_f32 v0, -0.5, v13, v0
	v_sub_f32_e32 v13, v77, v78
	v_sub_f32_e32 v79, v9, v11
	v_add_f32_e32 v9, v87, v9
	v_fmac_f32_e32 v87, -0.5, v73
	v_add_f32_e32 v73, v1, v77
	s_delay_alu instid0(VALU_DEP_3) | instskip(NEXT) | instid1(VALU_DEP_3)
	v_add_f32_e32 v9, v9, v11
	v_fmamk_f32 v11, v12, 0x3f5db3d7, v87
	v_dual_fmac_f32 v87, 0xbf5db3d7, v12 :: v_dual_add_f32 v12, v77, v78
	v_sub_f32_e32 v77, v15, v76
	s_delay_alu instid0(VALU_DEP_2)
	v_fmac_f32_e32 v1, -0.5, v12
	v_add_f32_e32 v12, v14, v76
	v_fmamk_f32 v10, v79, 0xbf5db3d7, v86
	v_fmac_f32_e32 v86, 0x3f5db3d7, v79
	v_fmamk_f32 v14, v13, 0xbf5db3d7, v0
	v_dual_fmac_f32 v0, 0x3f5db3d7, v13 :: v_dual_add_f32 v13, v73, v78
	v_fmamk_f32 v15, v77, 0x3f5db3d7, v1
	v_fmac_f32_e32 v1, 0xbf5db3d7, v77
	ds_store_2addr_b64 v125, v[4:5], v[6:7] offset1:6
	ds_store_b64 v125, v[2:3] offset:96
	ds_store_2addr_b64 v124, v[8:9], v[10:11] offset1:6
	ds_store_b64 v124, v[86:87] offset:96
	;; [unrolled: 2-line block ×3, first 2 shown]
	global_wb scope:SCOPE_SE
	s_wait_dscnt 0x0
	s_barrier_signal -1
	s_barrier_wait -1
	global_inv scope:SCOPE_SE
	ds_load_2addr_b64 v[0:3], v65 offset0:124 offset1:250
	ds_load_2addr_b64 v[4:7], v72 offset0:116 offset1:242
	;; [unrolled: 1-line block ×3, first 2 shown]
	ds_load_b64 v[76:77], v113 offset:8064
	ds_load_2addr_b64 v[12:15], v113 offset1:126
	global_wb scope:SCOPE_SE
	s_wait_dscnt 0x0
	s_barrier_signal -1
	s_barrier_wait -1
	global_inv scope:SCOPE_SE
	v_mul_f32_e32 v73, v37, v3
	v_dual_mul_f32 v37, v37, v2 :: v_dual_mul_f32 v78, v39, v5
	s_delay_alu instid0(VALU_DEP_2) | instskip(NEXT) | instid1(VALU_DEP_2)
	v_dual_fmac_f32 v73, v36, v2 :: v_dual_mul_f32 v2, v39, v4
	v_fma_f32 v3, v36, v3, -v37
	v_mul_f32_e32 v36, v21, v9
	s_delay_alu instid0(VALU_DEP_4) | instskip(SKIP_2) | instid1(VALU_DEP_4)
	v_fmac_f32_e32 v78, v38, v4
	v_mul_f32_e32 v4, v21, v8
	v_fma_f32 v5, v38, v5, -v2
	v_dual_mul_f32 v21, v23, v7 :: v_dual_fmac_f32 v36, v20, v8
	v_mul_f32_e32 v2, v23, v6
	s_delay_alu instid0(VALU_DEP_4) | instskip(SKIP_2) | instid1(VALU_DEP_4)
	v_fma_f32 v9, v20, v9, -v4
	v_mul_f32_e32 v4, v17, v10
	v_mul_f32_e32 v20, v17, v11
	v_fma_f32 v17, v22, v7, -v2
	v_dual_mul_f32 v2, v19, v76 :: v_dual_fmac_f32 v21, v22, v6
	v_add_f32_e32 v6, v12, v73
	v_mul_f32_e32 v22, v19, v77
	v_dual_fmac_f32 v20, v16, v10 :: v_dual_add_f32 v7, v3, v5
	v_fma_f32 v16, v16, v11, -v4
	v_add_f32_e32 v10, v13, v3
	v_add_f32_e32 v4, v73, v78
	v_dual_fmac_f32 v22, v18, v76 :: v_dual_sub_f32 v11, v73, v78
	v_fma_f32 v18, v18, v77, -v2
	v_sub_f32_e32 v8, v3, v5
	v_fma_f32 v3, -0.5, v7, v13
	v_add_f32_e32 v5, v10, v5
	v_fma_f32 v2, -0.5, v4, v12
	v_add_f32_e32 v4, v6, v78
	v_dual_add_f32 v10, v14, v36 :: v_dual_sub_f32 v13, v36, v21
	v_fmamk_f32 v7, v11, 0x3f5db3d7, v3
	s_delay_alu instid0(VALU_DEP_4) | instskip(SKIP_4) | instid1(VALU_DEP_4)
	v_dual_fmac_f32 v3, 0xbf5db3d7, v11 :: v_dual_fmamk_f32 v6, v8, 0xbf5db3d7, v2
	v_dual_add_f32 v11, v9, v17 :: v_dual_fmac_f32 v2, 0x3f5db3d7, v8
	v_sub_f32_e32 v12, v9, v17
	v_add_f32_e32 v9, v15, v9
	v_sub_f32_e32 v19, v16, v18
	v_dual_fmac_f32 v15, -0.5, v11 :: v_dual_add_f32 v8, v36, v21
	s_delay_alu instid0(VALU_DEP_3) | instskip(SKIP_1) | instid1(VALU_DEP_3)
	v_add_f32_e32 v9, v9, v17
	v_add_f32_e32 v17, v0, v20
	v_fmamk_f32 v11, v13, 0x3f5db3d7, v15
	s_delay_alu instid0(VALU_DEP_4) | instskip(SKIP_3) | instid1(VALU_DEP_4)
	v_fma_f32 v14, -0.5, v8, v14
	v_add_f32_e32 v8, v10, v21
	v_fmac_f32_e32 v15, 0xbf5db3d7, v13
	v_add_f32_e32 v13, v16, v18
	v_dual_add_f32 v21, v1, v16 :: v_dual_fmamk_f32 v10, v12, 0xbf5db3d7, v14
	v_fmac_f32_e32 v14, 0x3f5db3d7, v12
	s_delay_alu instid0(VALU_DEP_3) | instskip(SKIP_1) | instid1(VALU_DEP_4)
	v_dual_add_f32 v12, v20, v22 :: v_dual_fmac_f32 v1, -0.5, v13
	v_sub_f32_e32 v20, v20, v22
	v_add_f32_e32 v13, v21, v18
	s_delay_alu instid0(VALU_DEP_3) | instskip(NEXT) | instid1(VALU_DEP_3)
	v_fma_f32 v0, -0.5, v12, v0
	v_dual_add_f32 v12, v17, v22 :: v_dual_fmamk_f32 v17, v20, 0x3f5db3d7, v1
	s_delay_alu instid0(VALU_DEP_2)
	v_dual_fmac_f32 v1, 0xbf5db3d7, v20 :: v_dual_fmamk_f32 v16, v19, 0xbf5db3d7, v0
	v_fmac_f32_e32 v0, 0x3f5db3d7, v19
	ds_store_2addr_b64 v128, v[4:5], v[6:7] offset1:18
	ds_store_b64 v128, v[2:3] offset:288
	ds_store_2addr_b64 v127, v[8:9], v[10:11] offset1:18
	ds_store_b64 v127, v[14:15] offset:288
	;; [unrolled: 2-line block ×3, first 2 shown]
	global_wb scope:SCOPE_SE
	s_wait_dscnt 0x0
	s_barrier_signal -1
	s_barrier_wait -1
	global_inv scope:SCOPE_SE
	ds_load_2addr_b64 v[0:3], v65 offset0:124 offset1:250
	ds_load_2addr_b64 v[4:7], v72 offset0:116 offset1:242
	;; [unrolled: 1-line block ×3, first 2 shown]
	ds_load_b64 v[16:17], v113 offset:8064
	ds_load_2addr_b64 v[12:15], v113 offset1:126
	global_wb scope:SCOPE_SE
	s_wait_dscnt 0x0
	s_barrier_signal -1
	s_barrier_wait -1
	global_inv scope:SCOPE_SE
	v_mul_f32_e32 v18, v49, v3
	v_dual_mul_f32 v19, v49, v2 :: v_dual_mul_f32 v20, v51, v5
	v_mul_f32_e32 v23, v41, v11
	s_delay_alu instid0(VALU_DEP_3) | instskip(SKIP_1) | instid1(VALU_DEP_4)
	v_dual_mul_f32 v21, v47, v7 :: v_dual_fmac_f32 v18, v48, v2
	v_mul_f32_e32 v2, v51, v4
	v_fma_f32 v3, v48, v3, -v19
	v_dual_mul_f32 v19, v45, v9 :: v_dual_fmac_f32 v20, v50, v4
	v_mul_f32_e32 v4, v45, v8
	s_delay_alu instid0(VALU_DEP_4) | instskip(SKIP_1) | instid1(VALU_DEP_4)
	v_fma_f32 v2, v50, v5, -v2
	v_mul_f32_e32 v5, v47, v6
	v_fmac_f32_e32 v19, v44, v8
	v_mul_f32_e32 v37, v43, v17
	v_fma_f32 v22, v44, v9, -v4
	v_mul_f32_e32 v4, v41, v10
	v_fma_f32 v36, v46, v7, -v5
	v_mul_f32_e32 v5, v43, v16
	v_sub_f32_e32 v7, v3, v2
	s_delay_alu instid0(VALU_DEP_4) | instskip(SKIP_1) | instid1(VALU_DEP_1)
	v_fma_f32 v38, v40, v11, -v4
	v_add_f32_e32 v4, v18, v20
	v_fma_f32 v4, -0.5, v4, v12
	v_fmac_f32_e32 v21, v46, v6
	v_add_f32_e32 v6, v12, v18
	v_fma_f32 v17, v42, v17, -v5
	v_add_f32_e32 v5, v3, v2
	v_dual_fmamk_f32 v8, v7, 0xbf5db3d7, v4 :: v_dual_add_f32 v3, v13, v3
	v_dual_fmac_f32 v37, v42, v16 :: v_dual_fmac_f32 v4, 0x3f5db3d7, v7
	v_dual_fmac_f32 v23, v40, v10 :: v_dual_add_f32 v6, v6, v20
	s_delay_alu instid0(VALU_DEP_3) | instskip(SKIP_4) | instid1(VALU_DEP_4)
	v_add_f32_e32 v7, v3, v2
	v_add_f32_e32 v2, v19, v21
	v_sub_f32_e32 v10, v18, v20
	v_fma_f32 v5, -0.5, v5, v13
	v_dual_add_f32 v3, v14, v19 :: v_dual_sub_f32 v16, v19, v21
	v_fma_f32 v14, -0.5, v2, v14
	v_sub_f32_e32 v2, v22, v36
	v_add_f32_e32 v11, v22, v36
	v_fmamk_f32 v9, v10, 0x3f5db3d7, v5
	v_dual_fmac_f32 v5, 0xbf5db3d7, v10 :: v_dual_add_f32 v10, v3, v21
	s_delay_alu instid0(VALU_DEP_4) | instskip(NEXT) | instid1(VALU_DEP_4)
	v_dual_add_f32 v3, v15, v22 :: v_dual_fmamk_f32 v12, v2, 0xbf5db3d7, v14
	v_dual_fmac_f32 v14, 0x3f5db3d7, v2 :: v_dual_fmac_f32 v15, -0.5, v11
	v_sub_f32_e32 v18, v38, v17
	v_dual_add_f32 v2, v23, v37 :: v_dual_add_f32 v19, v1, v38
	s_delay_alu instid0(VALU_DEP_3) | instskip(SKIP_2) | instid1(VALU_DEP_4)
	v_dual_sub_f32 v20, v23, v37 :: v_dual_fmamk_f32 v13, v16, 0x3f5db3d7, v15
	v_dual_fmac_f32 v15, 0xbf5db3d7, v16 :: v_dual_add_f32 v16, v0, v23
	v_add_f32_e32 v11, v3, v36
	v_fma_f32 v0, -0.5, v2, v0
	v_add_f32_e32 v3, v38, v17
	s_delay_alu instid0(VALU_DEP_4) | instskip(NEXT) | instid1(VALU_DEP_3)
	v_add_f32_e32 v16, v16, v37
	v_fmamk_f32 v2, v18, 0xbf5db3d7, v0
	s_delay_alu instid0(VALU_DEP_3) | instskip(NEXT) | instid1(VALU_DEP_1)
	v_dual_fmac_f32 v0, 0x3f5db3d7, v18 :: v_dual_fmac_f32 v1, -0.5, v3
	v_fmamk_f32 v3, v20, 0x3f5db3d7, v1
	v_fmac_f32_e32 v1, 0xbf5db3d7, v20
	v_add_nc_u32_e32 v20, 0x800, v113
	v_add_f32_e32 v17, v19, v17
	ds_store_2addr_b64 v131, v[6:7], v[8:9] offset1:54
	ds_store_b64 v131, v[4:5] offset:864
	ds_store_2addr_b64 v130, v[10:11], v[12:13] offset1:54
	ds_store_b64 v130, v[14:15] offset:864
	;; [unrolled: 2-line block ×3, first 2 shown]
	global_wb scope:SCOPE_SE
	s_wait_dscnt 0x0
	s_barrier_signal -1
	s_barrier_wait -1
	global_inv scope:SCOPE_SE
	ds_load_2addr_b64 v[6:9], v113 offset1:162
	ds_load_2addr_b64 v[14:17], v20 offset0:68 offset1:230
	ds_load_2addr_b64 v[10:13], v72 offset0:8 offset1:170
	ds_load_b64 v[18:19], v113 offset:7776
	s_and_saveexec_b32 s1, s0
	s_cbranch_execz .LBB0_19
; %bb.18:
	v_add_nc_u32_e32 v0, 0x200, v113
	ds_load_2addr_b64 v[64:67], v64 offset0:66 offset1:228
	ds_load_2addr_b64 v[2:5], v0 offset0:62 offset1:224
	v_add_nc_u32_e32 v0, 0x1800, v113
	s_wait_dscnt 0x0
	v_dual_mov_b32 v74, v64 :: v_dual_mov_b32 v1, v5
	ds_load_b64 v[88:89], v113 offset:8784
	ds_load_2addr_b64 v[68:71], v0 offset0:6 offset1:168
	v_dual_mov_b32 v75, v65 :: v_dual_mov_b32 v0, v4
.LBB0_19:
	s_wait_alu 0xfffe
	s_or_b32 exec_lo, exec_lo, s1
	s_wait_dscnt 0x2
	v_dual_mul_f32 v4, v61, v9 :: v_dual_mul_f32 v21, v63, v15
	v_dual_mul_f32 v5, v61, v8 :: v_dual_mul_f32 v22, v63, v14
	s_wait_dscnt 0x1
	s_delay_alu instid0(VALU_DEP_2) | instskip(NEXT) | instid1(VALU_DEP_3)
	v_dual_mul_f32 v23, v59, v11 :: v_dual_fmac_f32 v4, v60, v8
	v_dual_mul_f32 v8, v57, v17 :: v_dual_fmac_f32 v21, v62, v14
	s_delay_alu instid0(VALU_DEP_3) | instskip(SKIP_2) | instid1(VALU_DEP_4)
	v_fma_f32 v5, v60, v9, -v5
	v_mul_f32_e32 v9, v57, v16
	v_fma_f32 v14, v62, v15, -v22
	v_dual_fmac_f32 v8, v56, v16 :: v_dual_fmac_f32 v23, v58, v10
	s_wait_dscnt 0x0
	v_dual_mul_f32 v15, v55, v19 :: v_dual_mul_f32 v22, v53, v12
	v_mul_f32_e32 v16, v55, v18
	v_fma_f32 v9, v56, v17, -v9
	v_dual_mul_f32 v10, v59, v10 :: v_dual_mul_f32 v17, v53, v13
	s_delay_alu instid0(VALU_DEP_4) | instskip(NEXT) | instid1(VALU_DEP_4)
	v_fmac_f32_e32 v15, v54, v18
	v_fma_f32 v16, v54, v19, -v16
	s_delay_alu instid0(VALU_DEP_3) | instskip(SKIP_2) | instid1(VALU_DEP_4)
	v_fma_f32 v10, v58, v11, -v10
	v_fma_f32 v11, v52, v13, -v22
	v_fmac_f32_e32 v17, v52, v12
	v_add_f32_e32 v13, v5, v16
	v_sub_f32_e32 v5, v5, v16
	v_add_f32_e32 v18, v9, v10
	v_add_f32_e32 v16, v14, v11
	v_sub_f32_e32 v11, v14, v11
	v_add_f32_e32 v14, v8, v23
	v_add_f32_e32 v12, v4, v15
	v_dual_sub_f32 v4, v4, v15 :: v_dual_add_f32 v15, v21, v17
	v_dual_sub_f32 v17, v21, v17 :: v_dual_sub_f32 v8, v23, v8
	v_sub_f32_e32 v9, v10, v9
	s_delay_alu instid0(VALU_DEP_3)
	v_dual_add_f32 v19, v16, v13 :: v_dual_add_f32 v10, v15, v12
	v_dual_sub_f32 v21, v15, v12 :: v_dual_sub_f32 v12, v12, v14
	v_sub_f32_e32 v22, v16, v13
	v_dual_sub_f32 v16, v18, v16 :: v_dual_add_f32 v23, v8, v17
	v_add_f32_e32 v36, v9, v11
	v_sub_f32_e32 v15, v14, v15
	v_dual_sub_f32 v37, v8, v17 :: v_dual_sub_f32 v38, v9, v11
	v_dual_sub_f32 v9, v5, v9 :: v_dual_add_f32 v10, v14, v10
	v_dual_sub_f32 v17, v17, v4 :: v_dual_add_f32 v14, v18, v19
	v_dual_sub_f32 v13, v13, v18 :: v_dual_sub_f32 v8, v4, v8
	v_sub_f32_e32 v11, v11, v5
	v_add_f32_e32 v18, v23, v4
	v_dual_add_f32 v4, v6, v10 :: v_dual_add_f32 v19, v36, v5
	v_dual_mul_f32 v6, 0x3f4a47b2, v12 :: v_dual_add_f32 v5, v7, v14
	v_mul_f32_e32 v12, 0x3d64c772, v15
	v_dual_mul_f32 v23, 0x3f08b237, v37 :: v_dual_mul_f32 v36, 0x3f08b237, v38
	v_dual_mul_f32 v37, 0xbf5ff5aa, v17 :: v_dual_mul_f32 v38, 0xbf5ff5aa, v11
	s_delay_alu instid0(VALU_DEP_3)
	v_fma_f32 v12, 0x3f3bfb3b, v21, -v12
	v_fmamk_f32 v15, v15, 0x3d64c772, v6
	v_fma_f32 v6, 0xbf3bfb3b, v21, -v6
	v_fmamk_f32 v21, v8, 0xbeae86e6, v23
	v_fma_f32 v17, 0xbf5ff5aa, v17, -v23
	v_fma_f32 v23, 0xbf5ff5aa, v11, -v36
	s_delay_alu instid0(VALU_DEP_3)
	v_fmac_f32_e32 v21, 0xbee1c552, v18
	v_fmamk_f32 v14, v14, 0xbf955555, v5
	v_fmamk_f32 v10, v10, 0xbf955555, v4
	v_mul_f32_e32 v7, 0x3f4a47b2, v13
	v_mul_f32_e32 v13, 0x3d64c772, v16
	v_fmac_f32_e32 v23, 0xbee1c552, v19
	s_delay_alu instid0(VALU_DEP_3) | instskip(NEXT) | instid1(VALU_DEP_3)
	v_fmamk_f32 v16, v16, 0x3d64c772, v7
	v_fma_f32 v13, 0x3f3bfb3b, v22, -v13
	v_fma_f32 v7, 0xbf3bfb3b, v22, -v7
	v_fmamk_f32 v22, v9, 0xbeae86e6, v36
	v_fma_f32 v36, 0x3eae86e6, v8, -v37
	v_fma_f32 v37, 0x3eae86e6, v9, -v38
	v_add_f32_e32 v39, v16, v14
	v_add_f32_e32 v12, v12, v10
	;; [unrolled: 1-line block ×4, first 2 shown]
	v_dual_add_f32 v16, v7, v14 :: v_dual_fmac_f32 v37, 0xbee1c552, v19
	v_fmac_f32_e32 v36, 0xbee1c552, v18
	v_fmac_f32_e32 v22, 0xbee1c552, v19
	v_dual_sub_f32 v10, v12, v23 :: v_dual_fmac_f32 v17, 0xbee1c552, v18
	v_add_f32_e32 v12, v23, v12
	v_dual_add_f32 v8, v37, v15 :: v_dual_sub_f32 v7, v39, v21
	v_add_f32_e32 v13, v13, v14
	v_dual_add_f32 v6, v22, v38 :: v_dual_sub_f32 v9, v16, v36
	v_dual_sub_f32 v14, v15, v37 :: v_dual_add_f32 v15, v36, v16
	s_delay_alu instid0(VALU_DEP_3)
	v_dual_add_f32 v11, v17, v13 :: v_dual_sub_f32 v16, v38, v22
	v_sub_f32_e32 v13, v13, v17
	v_add_f32_e32 v17, v21, v39
	ds_store_2addr_b64 v113, v[4:5], v[6:7] offset1:162
	ds_store_2addr_b64 v20, v[8:9], v[10:11] offset0:68 offset1:230
	ds_store_2addr_b64 v72, v[12:13], v[14:15] offset0:8 offset1:170
	ds_store_b64 v113, v[16:17] offset:7776
	s_and_saveexec_b32 s1, s0
	s_cbranch_execz .LBB0_21
; %bb.20:
	v_dual_mul_f32 v4, v29, v1 :: v_dual_mul_f32 v7, v31, v75
	v_dual_mul_f32 v5, v27, v69 :: v_dual_mul_f32 v6, v25, v67
	;; [unrolled: 1-line block ×3, first 2 shown]
	s_delay_alu instid0(VALU_DEP_3) | instskip(NEXT) | instid1(VALU_DEP_3)
	v_dual_fmac_f32 v7, v30, v74 :: v_dual_fmac_f32 v4, v28, v0
	v_dual_fmac_f32 v5, v26, v68 :: v_dual_fmac_f32 v6, v24, v66
	s_delay_alu instid0(VALU_DEP_3) | instskip(SKIP_2) | instid1(VALU_DEP_3)
	v_dual_fmac_f32 v8, v32, v70 :: v_dual_fmac_f32 v9, v34, v88
	v_mul_f32_e32 v12, v35, v88
	v_dual_mul_f32 v0, v29, v0 :: v_dual_mul_f32 v17, v31, v74
	v_dual_sub_f32 v10, v5, v6 :: v_dual_sub_f32 v11, v7, v8
	s_delay_alu instid0(VALU_DEP_4) | instskip(NEXT) | instid1(VALU_DEP_3)
	v_sub_f32_e32 v13, v4, v9
	v_fma_f32 v18, v28, v1, -v0
	s_delay_alu instid0(VALU_DEP_4) | instskip(SKIP_1) | instid1(VALU_DEP_4)
	v_fma_f32 v17, v30, v75, -v17
	v_mul_f32_e32 v0, v25, v66
	v_dual_sub_f32 v14, v10, v11 :: v_dual_sub_f32 v15, v13, v10
	v_mul_f32_e32 v1, v27, v68
	v_fma_f32 v12, v34, v89, -v12
	s_delay_alu instid0(VALU_DEP_4) | instskip(NEXT) | instid1(VALU_DEP_4)
	v_fma_f32 v0, v24, v67, -v0
	v_mul_f32_e32 v14, 0x3f08b237, v14
	v_add_f32_e32 v10, v10, v11
	v_fma_f32 v20, v26, v69, -v1
	v_add_f32_e32 v19, v12, v18
	v_mul_f32_e32 v16, v33, v70
	v_dual_add_f32 v4, v9, v4 :: v_dual_add_f32 v5, v6, v5
	s_delay_alu instid0(VALU_DEP_4) | instskip(SKIP_1) | instid1(VALU_DEP_4)
	v_add_f32_e32 v1, v0, v20
	v_sub_f32_e32 v11, v11, v13
	v_fma_f32 v16, v32, v71, -v16
	v_add_f32_e32 v7, v8, v7
	v_sub_f32_e32 v20, v20, v0
	v_sub_f32_e32 v24, v19, v1
	s_delay_alu instid0(VALU_DEP_4) | instskip(SKIP_1) | instid1(VALU_DEP_2)
	v_dual_add_f32 v21, v16, v17 :: v_dual_fmamk_f32 v22, v15, 0xbeae86e6, v14
	v_sub_f32_e32 v16, v17, v16
	v_dual_add_f32 v23, v21, v19 :: v_dual_add_f32 v10, v10, v13
	v_sub_f32_e32 v8, v1, v21
	v_sub_f32_e32 v13, v21, v19
	s_delay_alu instid0(VALU_DEP_3) | instskip(NEXT) | instid1(VALU_DEP_1)
	v_dual_add_f32 v23, v1, v23 :: v_dual_fmac_f32 v22, 0xbee1c552, v10
	v_add_f32_e32 v1, v3, v23
	v_add_f32_e32 v3, v7, v4
	s_delay_alu instid0(VALU_DEP_1) | instskip(SKIP_3) | instid1(VALU_DEP_3)
	v_add_f32_e32 v3, v5, v3
	v_mul_f32_e32 v9, 0x3f4a47b2, v24
	v_mul_f32_e32 v6, 0x3d64c772, v8
	v_dual_sub_f32 v24, v4, v5 :: v_dual_fmamk_f32 v23, v23, 0xbf955555, v1
	v_dual_sub_f32 v5, v5, v7 :: v_dual_fmamk_f32 v8, v8, 0x3d64c772, v9
	s_delay_alu instid0(VALU_DEP_2) | instskip(SKIP_2) | instid1(VALU_DEP_4)
	v_dual_add_f32 v0, v2, v3 :: v_dual_mul_f32 v17, 0x3f4a47b2, v24
	v_sub_f32_e32 v2, v18, v12
	v_sub_f32_e32 v4, v7, v4
	v_add_f32_e32 v18, v8, v23
	s_delay_alu instid0(VALU_DEP_4)
	v_fmamk_f32 v24, v3, 0xbf955555, v0
	v_dual_fmamk_f32 v8, v5, 0x3d64c772, v17 :: v_dual_mul_f32 v5, 0x3d64c772, v5
	v_sub_f32_e32 v7, v16, v2
	v_sub_f32_e32 v25, v2, v20
	v_dual_sub_f32 v12, v20, v16 :: v_dual_add_f32 v3, v22, v18
	v_fma_f32 v6, 0x3f3bfb3b, v13, -v6
	s_delay_alu instid0(VALU_DEP_2) | instskip(SKIP_2) | instid1(VALU_DEP_1)
	v_mul_f32_e32 v12, 0x3f08b237, v12
	v_add_f32_e32 v26, v8, v24
	v_mul_f32_e32 v8, 0xbf5ff5aa, v11
	v_fma_f32 v15, 0x3eae86e6, v15, -v8
	v_add_f32_e32 v16, v20, v16
	v_fma_f32 v8, 0xbf3bfb3b, v13, -v9
	v_fma_f32 v9, 0xbf3bfb3b, v4, -v17
	v_mul_f32_e32 v17, 0xbf5ff5aa, v7
	v_fmac_f32_e32 v15, 0xbee1c552, v10
	v_add_f32_e32 v2, v16, v2
	v_fma_f32 v4, 0x3f3bfb3b, v4, -v5
	v_add_f32_e32 v19, v9, v24
	v_fma_f32 v17, 0x3eae86e6, v25, -v17
	;; [unrolled: 2-line block ×3, first 2 shown]
	v_add_f32_e32 v9, v6, v23
	v_fmamk_f32 v27, v25, 0xbeae86e6, v12
	v_fma_f32 v11, 0xbf5ff5aa, v7, -v12
	v_add_f32_e32 v5, v15, v16
	v_fmac_f32_e32 v17, 0xbee1c552, v2
	v_fmac_f32_e32 v8, 0xbee1c552, v10
	s_delay_alu instid0(VALU_DEP_4) | instskip(NEXT) | instid1(VALU_DEP_3)
	v_dual_add_f32 v10, v4, v24 :: v_dual_fmac_f32 v11, 0xbee1c552, v2
	v_dual_fmac_f32 v27, 0xbee1c552, v2 :: v_dual_sub_f32 v4, v19, v17
	s_delay_alu instid0(VALU_DEP_3) | instskip(NEXT) | instid1(VALU_DEP_3)
	v_sub_f32_e32 v7, v9, v8
	v_dual_add_f32 v9, v8, v9 :: v_dual_sub_f32 v8, v10, v11
	v_add_f32_e32 v6, v11, v10
	v_dual_add_f32 v10, v17, v19 :: v_dual_sub_f32 v13, v18, v22
	v_add_f32_e32 v12, v27, v26
	v_dual_sub_f32 v11, v16, v15 :: v_dual_add_nc_u32 v14, 0x200, v113
	v_add_nc_u32_e32 v15, 0xc00, v113
	v_add_nc_u32_e32 v16, 0x1800, v113
	v_sub_f32_e32 v2, v26, v27
	ds_store_2addr_b64 v14, v[0:1], v[12:13] offset0:62 offset1:224
	ds_store_2addr_b64 v15, v[10:11], v[8:9] offset0:66 offset1:228
	;; [unrolled: 1-line block ×3, first 2 shown]
	ds_store_b64 v113, v[2:3] offset:8784
.LBB0_21:
	s_wait_alu 0xfffe
	s_or_b32 exec_lo, exec_lo, s1
	global_wb scope:SCOPE_SE
	s_wait_dscnt 0x0
	s_barrier_signal -1
	s_barrier_wait -1
	global_inv scope:SCOPE_SE
	ds_load_2addr_b64 v[0:3], v113 offset1:126
	v_add_nc_u32_e32 v4, 0x1000, v113
	v_add_nc_u32_e32 v8, 0x400, v113
	v_mad_co_u64_u32 v[32:33], null, s6, v90, 0
	v_mad_co_u64_u32 v[34:35], null, s4, v114, 0
	s_mov_b32 s2, 0x8eac7900
	s_mov_b32 s3, 0x3f4ce55c
	s_mul_u64 s[0:1], s[4:5], 0x237
	s_movk_i32 s10, 0xfe47
	s_mov_b32 s11, -1
	s_delay_alu instid0(VALU_DEP_1)
	v_mad_co_u64_u32 v[36:37], null, s7, v90, v[33:34]
	s_wait_alu 0xfffe
	s_lshl_b64 s[6:7], s[0:1], 3
	s_wait_dscnt 0x0
	v_mul_f32_e32 v19, v98, v2
	v_mul_f32_e32 v17, v96, v0
	ds_load_2addr_b64 v[4:7], v4 offset0:55 offset1:181
	v_add_nc_u32_e32 v12, 0x1800, v113
	v_mad_co_u64_u32 v[37:38], null, s5, v114, v[35:36]
	v_mul_f32_e32 v16, v96, v1
	v_fma_f32 v17, v95, v1, -v17
	v_fma_f32 v19, v97, v3, -v19
	s_mul_u64 s[4:5], s[4:5], s[10:11]
	v_mov_b32_e32 v33, v36
	s_wait_alu 0xfffe
	s_lshl_b64 s[4:5], s[4:5], 3
	v_mov_b32_e32 v35, v37
	s_delay_alu instid0(VALU_DEP_2) | instskip(NEXT) | instid1(VALU_DEP_2)
	v_lshlrev_b64_e32 v[32:33], 3, v[32:33]
	v_lshlrev_b64_e32 v[34:35], 3, v[34:35]
	s_delay_alu instid0(VALU_DEP_2)
	v_add_co_u32 v32, s0, s8, v32
	s_wait_dscnt 0x0
	v_mul_f32_e32 v23, v106, v6
	v_mul_f32_e32 v21, v108, v4
	ds_load_2addr_b64 v[8:11], v8 offset0:124 offset1:250
	ds_load_2addr_b64 v[12:15], v12 offset0:51 offset1:177
	v_mul_f32_e32 v18, v98, v3
	v_mul_f32_e32 v20, v108, v5
	v_fmac_f32_e32 v16, v95, v0
	v_mul_f32_e32 v22, v106, v7
	v_fma_f32 v21, v107, v5, -v21
	v_fma_f32 v23, v105, v7, -v23
	v_fmac_f32_e32 v20, v107, v4
	s_wait_alu 0xf1ff
	v_add_co_ci_u32_e64 v33, s0, s9, v33, s0
	v_add_co_u32 v32, s0, v32, v34
	s_wait_alu 0xf1ff
	s_delay_alu instid0(VALU_DEP_2)
	v_add_co_ci_u32_e64 v33, s0, v33, v35, s0
	s_wait_dscnt 0x1
	v_mul_f32_e32 v25, v100, v8
	s_wait_dscnt 0x0
	v_dual_mul_f32 v31, v104, v14 :: v_dual_mul_f32 v26, v94, v13
	v_fmac_f32_e32 v18, v97, v2
	v_dual_mul_f32 v24, v100, v9 :: v_dual_mul_f32 v29, v102, v10
	v_cvt_f64_f32_e32 v[0:1], v16
	s_delay_alu instid0(VALU_DEP_4)
	v_fmac_f32_e32 v26, v93, v12
	v_mul_f32_e32 v12, v94, v12
	v_cvt_f64_f32_e32 v[2:3], v17
	v_mul_f32_e32 v28, v102, v11
	v_cvt_f64_f32_e32 v[4:5], v18
	v_cvt_f64_f32_e32 v[16:17], v19
	v_fmac_f32_e32 v22, v105, v6
	v_cvt_f64_f32_e32 v[6:7], v20
	v_cvt_f64_f32_e32 v[18:19], v21
	v_mul_f32_e32 v30, v104, v15
	v_fmac_f32_e32 v24, v99, v8
	v_fma_f32 v25, v99, v9, -v25
	v_fma_f32 v12, v93, v13, -v12
	;; [unrolled: 1-line block ×3, first 2 shown]
	v_fmac_f32_e32 v28, v101, v10
	v_fmac_f32_e32 v30, v103, v14
	v_fma_f32 v31, v103, v15, -v31
	v_cvt_f64_f32_e32 v[8:9], v22
	v_cvt_f64_f32_e32 v[20:21], v23
	;; [unrolled: 1-line block ×10, first 2 shown]
	v_mul_f64_e32 v[0:1], s[2:3], v[0:1]
	v_mul_f64_e32 v[2:3], s[2:3], v[2:3]
	;; [unrolled: 1-line block ×16, first 2 shown]
	v_cvt_f32_f64_e32 v0, v[0:1]
	v_cvt_f32_f64_e32 v1, v[2:3]
	v_cvt_f32_f64_e32 v2, v[4:5]
	v_cvt_f32_f64_e32 v3, v[16:17]
	v_cvt_f32_f64_e32 v4, v[6:7]
	v_cvt_f32_f64_e32 v5, v[18:19]
	v_cvt_f32_f64_e32 v6, v[8:9]
	v_cvt_f32_f64_e32 v7, v[20:21]
	v_cvt_f32_f64_e32 v8, v[22:23]
	v_cvt_f32_f64_e32 v9, v[24:25]
	v_cvt_f32_f64_e32 v17, v[10:11]
	v_cvt_f32_f64_e32 v11, v[14:15]
	v_add_co_u32 v14, s0, v32, s6
	v_cvt_f32_f64_e32 v16, v[26:27]
	v_cvt_f32_f64_e32 v10, v[12:13]
	s_wait_alu 0xf1ff
	v_add_co_ci_u32_e64 v15, s0, s7, v33, s0
	v_cvt_f32_f64_e32 v12, v[28:29]
	v_cvt_f32_f64_e32 v13, v[30:31]
	s_wait_alu 0xfffe
	v_add_co_u32 v18, s0, v14, s4
	s_wait_alu 0xf1ff
	v_add_co_ci_u32_e64 v19, s0, s5, v15, s0
	s_clause 0x2
	global_store_b64 v[32:33], v[0:1], off
	global_store_b64 v[14:15], v[4:5], off
	;; [unrolled: 1-line block ×3, first 2 shown]
	v_add_co_u32 v20, s0, v18, s6
	s_wait_alu 0xf1ff
	v_add_co_ci_u32_e64 v21, s0, s7, v19, s0
	s_delay_alu instid0(VALU_DEP_2) | instskip(SKIP_1) | instid1(VALU_DEP_2)
	v_add_co_u32 v22, s0, v20, s4
	s_wait_alu 0xf1ff
	v_add_co_ci_u32_e64 v23, s0, s5, v21, s0
	s_delay_alu instid0(VALU_DEP_2) | instskip(SKIP_1) | instid1(VALU_DEP_2)
	;; [unrolled: 4-line block ×4, first 2 shown]
	v_add_co_u32 v0, s0, v26, s6
	s_wait_alu 0xf1ff
	v_add_co_ci_u32_e64 v1, s0, s7, v27, s0
	s_clause 0x1
	global_store_b64 v[20:21], v[6:7], off
	global_store_b64 v[22:23], v[8:9], off
	;; [unrolled: 1-line block ×5, first 2 shown]
	s_and_b32 exec_lo, exec_lo, vcc_lo
	s_cbranch_execz .LBB0_23
; %bb.22:
	s_clause 0x1
	global_load_b64 v[2:3], v[91:92], off offset:4032
	global_load_b64 v[4:5], v[91:92], off offset:8568
	ds_load_b64 v[6:7], v113 offset:4032
	ds_load_b64 v[8:9], v113 offset:8568
	v_add_co_u32 v0, vcc_lo, v0, s4
	s_wait_alu 0xfffd
	v_add_co_ci_u32_e32 v1, vcc_lo, s5, v1, vcc_lo
	s_wait_loadcnt_dscnt 0x0
	v_dual_mul_f32 v10, v7, v3 :: v_dual_mul_f32 v11, v9, v5
	v_mul_f32_e32 v3, v6, v3
	s_delay_alu instid0(VALU_DEP_2) | instskip(NEXT) | instid1(VALU_DEP_3)
	v_dual_mul_f32 v5, v8, v5 :: v_dual_fmac_f32 v10, v6, v2
	v_fmac_f32_e32 v11, v8, v4
	s_delay_alu instid0(VALU_DEP_3) | instskip(NEXT) | instid1(VALU_DEP_3)
	v_fma_f32 v6, v2, v7, -v3
	v_fma_f32 v8, v4, v9, -v5
	s_delay_alu instid0(VALU_DEP_4) | instskip(NEXT) | instid1(VALU_DEP_3)
	v_cvt_f64_f32_e32 v[2:3], v10
	v_cvt_f64_f32_e32 v[4:5], v6
	;; [unrolled: 1-line block ×3, first 2 shown]
	s_delay_alu instid0(VALU_DEP_4) | instskip(NEXT) | instid1(VALU_DEP_4)
	v_cvt_f64_f32_e32 v[8:9], v8
	v_mul_f64_e32 v[2:3], s[2:3], v[2:3]
	s_delay_alu instid0(VALU_DEP_4) | instskip(NEXT) | instid1(VALU_DEP_4)
	v_mul_f64_e32 v[4:5], s[2:3], v[4:5]
	v_mul_f64_e32 v[6:7], s[2:3], v[6:7]
	s_delay_alu instid0(VALU_DEP_4) | instskip(NEXT) | instid1(VALU_DEP_4)
	v_mul_f64_e32 v[8:9], s[2:3], v[8:9]
	v_cvt_f32_f64_e32 v2, v[2:3]
	s_delay_alu instid0(VALU_DEP_4) | instskip(NEXT) | instid1(VALU_DEP_4)
	v_cvt_f32_f64_e32 v3, v[4:5]
	v_cvt_f32_f64_e32 v4, v[6:7]
	s_delay_alu instid0(VALU_DEP_4)
	v_cvt_f32_f64_e32 v5, v[8:9]
	v_add_co_u32 v6, vcc_lo, v0, s6
	s_wait_alu 0xfffd
	v_add_co_ci_u32_e32 v7, vcc_lo, s7, v1, vcc_lo
	global_store_b64 v[0:1], v[2:3], off
	global_store_b64 v[6:7], v[4:5], off
.LBB0_23:
	s_nop 0
	s_sendmsg sendmsg(MSG_DEALLOC_VGPRS)
	s_endpgm
	.section	.rodata,"a",@progbits
	.p2align	6, 0x0
	.amdhsa_kernel bluestein_single_fwd_len1134_dim1_sp_op_CI_CI
		.amdhsa_group_segment_fixed_size 9072
		.amdhsa_private_segment_fixed_size 0
		.amdhsa_kernarg_size 104
		.amdhsa_user_sgpr_count 2
		.amdhsa_user_sgpr_dispatch_ptr 0
		.amdhsa_user_sgpr_queue_ptr 0
		.amdhsa_user_sgpr_kernarg_segment_ptr 1
		.amdhsa_user_sgpr_dispatch_id 0
		.amdhsa_user_sgpr_private_segment_size 0
		.amdhsa_wavefront_size32 1
		.amdhsa_uses_dynamic_stack 0
		.amdhsa_enable_private_segment 0
		.amdhsa_system_sgpr_workgroup_id_x 1
		.amdhsa_system_sgpr_workgroup_id_y 0
		.amdhsa_system_sgpr_workgroup_id_z 0
		.amdhsa_system_sgpr_workgroup_info 0
		.amdhsa_system_vgpr_workitem_id 0
		.amdhsa_next_free_vgpr 153
		.amdhsa_next_free_sgpr 18
		.amdhsa_reserve_vcc 1
		.amdhsa_float_round_mode_32 0
		.amdhsa_float_round_mode_16_64 0
		.amdhsa_float_denorm_mode_32 3
		.amdhsa_float_denorm_mode_16_64 3
		.amdhsa_fp16_overflow 0
		.amdhsa_workgroup_processor_mode 1
		.amdhsa_memory_ordered 1
		.amdhsa_forward_progress 0
		.amdhsa_round_robin_scheduling 0
		.amdhsa_exception_fp_ieee_invalid_op 0
		.amdhsa_exception_fp_denorm_src 0
		.amdhsa_exception_fp_ieee_div_zero 0
		.amdhsa_exception_fp_ieee_overflow 0
		.amdhsa_exception_fp_ieee_underflow 0
		.amdhsa_exception_fp_ieee_inexact 0
		.amdhsa_exception_int_div_zero 0
	.end_amdhsa_kernel
	.text
.Lfunc_end0:
	.size	bluestein_single_fwd_len1134_dim1_sp_op_CI_CI, .Lfunc_end0-bluestein_single_fwd_len1134_dim1_sp_op_CI_CI
                                        ; -- End function
	.section	.AMDGPU.csdata,"",@progbits
; Kernel info:
; codeLenInByte = 11952
; NumSgprs: 20
; NumVgprs: 153
; ScratchSize: 0
; MemoryBound: 0
; FloatMode: 240
; IeeeMode: 1
; LDSByteSize: 9072 bytes/workgroup (compile time only)
; SGPRBlocks: 2
; VGPRBlocks: 19
; NumSGPRsForWavesPerEU: 20
; NumVGPRsForWavesPerEU: 153
; Occupancy: 9
; WaveLimiterHint : 1
; COMPUTE_PGM_RSRC2:SCRATCH_EN: 0
; COMPUTE_PGM_RSRC2:USER_SGPR: 2
; COMPUTE_PGM_RSRC2:TRAP_HANDLER: 0
; COMPUTE_PGM_RSRC2:TGID_X_EN: 1
; COMPUTE_PGM_RSRC2:TGID_Y_EN: 0
; COMPUTE_PGM_RSRC2:TGID_Z_EN: 0
; COMPUTE_PGM_RSRC2:TIDIG_COMP_CNT: 0
	.text
	.p2alignl 7, 3214868480
	.fill 96, 4, 3214868480
	.type	__hip_cuid_383a1d63232d1442,@object ; @__hip_cuid_383a1d63232d1442
	.section	.bss,"aw",@nobits
	.globl	__hip_cuid_383a1d63232d1442
__hip_cuid_383a1d63232d1442:
	.byte	0                               ; 0x0
	.size	__hip_cuid_383a1d63232d1442, 1

	.ident	"AMD clang version 19.0.0git (https://github.com/RadeonOpenCompute/llvm-project roc-6.4.0 25133 c7fe45cf4b819c5991fe208aaa96edf142730f1d)"
	.section	".note.GNU-stack","",@progbits
	.addrsig
	.addrsig_sym __hip_cuid_383a1d63232d1442
	.amdgpu_metadata
---
amdhsa.kernels:
  - .args:
      - .actual_access:  read_only
        .address_space:  global
        .offset:         0
        .size:           8
        .value_kind:     global_buffer
      - .actual_access:  read_only
        .address_space:  global
        .offset:         8
        .size:           8
        .value_kind:     global_buffer
      - .actual_access:  read_only
        .address_space:  global
        .offset:         16
        .size:           8
        .value_kind:     global_buffer
      - .actual_access:  read_only
        .address_space:  global
        .offset:         24
        .size:           8
        .value_kind:     global_buffer
      - .actual_access:  read_only
        .address_space:  global
        .offset:         32
        .size:           8
        .value_kind:     global_buffer
      - .offset:         40
        .size:           8
        .value_kind:     by_value
      - .address_space:  global
        .offset:         48
        .size:           8
        .value_kind:     global_buffer
      - .address_space:  global
        .offset:         56
        .size:           8
        .value_kind:     global_buffer
      - .address_space:  global
        .offset:         64
        .size:           8
        .value_kind:     global_buffer
      - .address_space:  global
        .offset:         72
        .size:           8
        .value_kind:     global_buffer
      - .offset:         80
        .size:           4
        .value_kind:     by_value
      - .address_space:  global
        .offset:         88
        .size:           8
        .value_kind:     global_buffer
      - .address_space:  global
        .offset:         96
        .size:           8
        .value_kind:     global_buffer
    .group_segment_fixed_size: 9072
    .kernarg_segment_align: 8
    .kernarg_segment_size: 104
    .language:       OpenCL C
    .language_version:
      - 2
      - 0
    .max_flat_workgroup_size: 126
    .name:           bluestein_single_fwd_len1134_dim1_sp_op_CI_CI
    .private_segment_fixed_size: 0
    .sgpr_count:     20
    .sgpr_spill_count: 0
    .symbol:         bluestein_single_fwd_len1134_dim1_sp_op_CI_CI.kd
    .uniform_work_group_size: 1
    .uses_dynamic_stack: false
    .vgpr_count:     153
    .vgpr_spill_count: 0
    .wavefront_size: 32
    .workgroup_processor_mode: 1
amdhsa.target:   amdgcn-amd-amdhsa--gfx1201
amdhsa.version:
  - 1
  - 2
...

	.end_amdgpu_metadata
